;; amdgpu-corpus repo=ROCm/rocFFT kind=compiled arch=gfx1100 opt=O3
	.text
	.amdgcn_target "amdgcn-amd-amdhsa--gfx1100"
	.amdhsa_code_object_version 6
	.protected	bluestein_single_back_len650_dim1_dp_op_CI_CI ; -- Begin function bluestein_single_back_len650_dim1_dp_op_CI_CI
	.globl	bluestein_single_back_len650_dim1_dp_op_CI_CI
	.p2align	8
	.type	bluestein_single_back_len650_dim1_dp_op_CI_CI,@function
bluestein_single_back_len650_dim1_dp_op_CI_CI: ; @bluestein_single_back_len650_dim1_dp_op_CI_CI
; %bb.0:
	s_load_b128 s[16:19], s[0:1], 0x28
	v_mul_u32_u24_e32 v1, 0x3f1, v0
	s_mov_b32 s2, exec_lo
	s_delay_alu instid0(VALU_DEP_1) | instskip(NEXT) | instid1(VALU_DEP_1)
	v_lshrrev_b32_e32 v1, 16, v1
	v_mad_u64_u32 v[140:141], null, s15, 3, v[1:2]
	v_mov_b32_e32 v141, 0
	s_waitcnt lgkmcnt(0)
	s_delay_alu instid0(VALU_DEP_1)
	v_cmpx_gt_u64_e64 s[16:17], v[140:141]
	s_cbranch_execz .LBB0_10
; %bb.1:
	s_clause 0x1
	s_load_b128 s[4:7], s[0:1], 0x18
	s_load_b128 s[8:11], s[0:1], 0x0
	v_mul_lo_u16 v1, 0x41, v1
	s_mov_b32 s16, 0x372fe950
	s_mov_b32 s17, 0x3fd3c6ef
	s_delay_alu instid0(VALU_DEP_1) | instskip(NEXT) | instid1(VALU_DEP_1)
	v_sub_nc_u16 v0, v0, v1
	v_and_b32_e32 v4, 0xffff, v0
	s_waitcnt lgkmcnt(0)
	s_load_b128 s[12:15], s[4:5], 0x0
	s_waitcnt lgkmcnt(0)
	s_delay_alu instid0(VALU_DEP_1) | instskip(SKIP_3) | instid1(VALU_DEP_2)
	v_mad_u64_u32 v[6:7], null, s12, v4, 0
	v_mad_u64_u32 v[1:2], null, s14, v140, 0
	s_mul_hi_u32 s3, s12, 0x410
	s_mul_i32 s4, s12, 0x410
	v_mov_b32_e32 v3, v7
	scratch_store_b32 off, v4, off          ; 4-byte Folded Spill
	v_mad_u64_u32 v[7:8], null, s15, v140, v[2:3]
	v_mad_u64_u32 v[8:9], null, s13, v4, v[3:4]
	v_lshlrev_b32_e32 v12, 4, v4
	v_mul_hi_u32 v3, 0xaaaaaaab, v140
	s_mov_b32 s15, 0xbfee6f0e
	s_delay_alu instid0(VALU_DEP_3) | instskip(NEXT) | instid1(VALU_DEP_3)
	v_dual_mov_b32 v2, v7 :: v_dual_mov_b32 v7, v8
	v_add_co_u32 v39, s2, s8, v12
	s_delay_alu instid0(VALU_DEP_1) | instskip(NEXT) | instid1(VALU_DEP_3)
	v_add_co_ci_u32_e64 v5, null, s9, 0, s2
	v_lshlrev_b64 v[1:2], 4, v[1:2]
	s_delay_alu instid0(VALU_DEP_3) | instskip(NEXT) | instid1(VALU_DEP_3)
	v_add_co_u32 v8, vcc_lo, 0x1000, v39
	v_add_co_ci_u32_e32 v9, vcc_lo, 0, v5, vcc_lo
	v_lshlrev_b64 v[6:7], 4, v[6:7]
	s_delay_alu instid0(VALU_DEP_4) | instskip(SKIP_2) | instid1(VALU_DEP_2)
	v_add_co_u32 v1, vcc_lo, s18, v1
	v_add_co_ci_u32_e32 v2, vcc_lo, s19, v2, vcc_lo
	s_mul_i32 s2, s13, 0x410
	v_add_co_u32 v1, vcc_lo, v1, v6
	s_delay_alu instid0(VALU_DEP_2) | instskip(SKIP_1) | instid1(VALU_DEP_2)
	v_add_co_ci_u32_e32 v2, vcc_lo, v2, v7, vcc_lo
	s_add_i32 s3, s3, s2
	v_add_co_u32 v10, vcc_lo, v1, s4
	s_delay_alu instid0(VALU_DEP_2) | instskip(SKIP_2) | instid1(VALU_DEP_4)
	v_add_co_ci_u32_e32 v11, vcc_lo, s3, v2, vcc_lo
	v_add_co_u32 v239, vcc_lo, 0x2000, v39
	v_add_co_ci_u32_e32 v240, vcc_lo, 0, v5, vcc_lo
	v_add_co_u32 v32, vcc_lo, v10, s4
	s_delay_alu instid0(VALU_DEP_4)
	v_add_co_ci_u32_e32 v33, vcc_lo, s3, v11, vcc_lo
	s_clause 0x3
	global_load_b128 v[13:16], v12, s[8:9]
	global_load_b128 v[17:20], v12, s[8:9] offset:1040
	global_load_b128 v[21:24], v12, s[8:9] offset:2080
	;; [unrolled: 1-line block ×3, first 2 shown]
	v_add_co_u32 v34, vcc_lo, v32, s4
	v_add_co_ci_u32_e32 v35, vcc_lo, s3, v33, vcc_lo
	s_clause 0x1
	global_load_b128 v[120:123], v[8:9], off offset:64
	global_load_b128 v[112:115], v[8:9], off offset:1104
	v_add_co_u32 v36, vcc_lo, v34, s4
	v_add_co_ci_u32_e32 v37, vcc_lo, s3, v35, vcc_lo
	s_clause 0x1
	global_load_b128 v[124:127], v[8:9], off offset:2144
	global_load_b128 v[116:119], v[8:9], off offset:3184
	global_load_b128 v[6:9], v[1:2], off
	v_add_co_u32 v1, vcc_lo, v36, s4
	v_add_co_ci_u32_e32 v2, vcc_lo, s3, v37, vcc_lo
	s_clause 0x1
	global_load_b128 v[40:43], v[10:11], off
	global_load_b128 v[44:47], v[32:33], off
	v_add_co_u32 v10, vcc_lo, v1, s4
	v_add_co_ci_u32_e32 v11, vcc_lo, s3, v2, vcc_lo
	s_clause 0x1
	global_load_b128 v[48:51], v[34:35], off
	global_load_b128 v[52:55], v[36:37], off
	v_add_co_u32 v32, vcc_lo, v10, s4
	v_add_co_ci_u32_e32 v33, vcc_lo, s3, v11, vcc_lo
	global_load_b128 v[56:59], v[1:2], off
	v_add_co_u32 v1, vcc_lo, v32, s4
	v_add_co_ci_u32_e32 v2, vcc_lo, s3, v33, vcc_lo
	global_load_b128 v[60:63], v[10:11], off
	v_add_co_u32 v10, vcc_lo, v1, s4
	v_add_co_ci_u32_e32 v11, vcc_lo, s3, v2, vcc_lo
	global_load_b128 v[64:67], v[32:33], off
	global_load_b128 v[68:71], v[1:2], off
	s_clause 0x1
	global_load_b128 v[29:32], v[239:240], off offset:128
	global_load_b128 v[33:36], v[239:240], off offset:1168
	global_load_b128 v[72:75], v[10:11], off
	v_lshrrev_b32_e32 v3, 1, v3
	s_load_b128 s[4:7], s[6:7], 0x0
	s_mov_b32 s8, 0x134454ff
	s_mov_b32 s9, 0x3fee6f0e
	;; [unrolled: 1-line block ×9, first 2 shown]
	v_cmp_gt_u16_e32 vcc_lo, 50, v0
	s_waitcnt vmcnt(19)
	scratch_store_b128 off, v[13:16], off offset:4 ; 16-byte Folded Spill
	s_waitcnt vmcnt(18)
	scratch_store_b128 off, v[17:20], off offset:20 ; 16-byte Folded Spill
	;; [unrolled: 2-line block ×8, first 2 shown]
	s_waitcnt vmcnt(11)
	v_mul_f64 v[1:2], v[8:9], v[15:16]
	v_mul_f64 v[10:11], v[6:7], v[15:16]
	s_waitcnt vmcnt(10)
	v_mul_f64 v[76:77], v[42:43], v[19:20]
	v_mul_f64 v[78:79], v[40:41], v[19:20]
	;; [unrolled: 3-line block ×10, first 2 shown]
	s_clause 0x1
	scratch_store_b128 off, v[29:32], off offset:132
	scratch_store_b128 off, v[33:36], off offset:148
	v_fma_f64 v[6:7], v[6:7], v[13:14], v[1:2]
	v_fma_f64 v[8:9], v[8:9], v[13:14], -v[10:11]
	v_lshl_add_u32 v1, v3, 1, v3
	v_and_b32_e32 v3, 0xff, v0
	v_fma_f64 v[40:41], v[40:41], v[17:18], v[76:77]
	v_fma_f64 v[42:43], v[42:43], v[17:18], -v[78:79]
	v_fma_f64 v[44:45], v[44:45], v[21:22], v[80:81]
	v_fma_f64 v[46:47], v[46:47], v[21:22], -v[82:83]
	v_sub_nc_u32_e32 v1, v140, v1
	v_fma_f64 v[48:49], v[48:49], v[25:26], v[84:85]
	v_fma_f64 v[50:51], v[50:51], v[25:26], -v[86:87]
	v_fma_f64 v[52:53], v[52:53], v[120:121], v[88:89]
	v_fma_f64 v[54:55], v[54:55], v[120:121], -v[90:91]
	v_mul_u32_u24_e32 v1, 0x28a, v1
	v_mul_lo_u16 v3, 0xcd, v3
	v_fma_f64 v[56:57], v[56:57], v[112:113], v[92:93]
	v_fma_f64 v[58:59], v[58:59], v[112:113], -v[94:95]
	s_delay_alu instid0(VALU_DEP_4) | instskip(NEXT) | instid1(VALU_DEP_4)
	v_lshlrev_b32_e32 v14, 4, v1
	v_lshrrev_b16 v3, 11, v3
	v_fma_f64 v[60:61], v[60:61], v[124:125], v[96:97]
	v_fma_f64 v[62:63], v[62:63], v[124:125], -v[98:99]
	v_fma_f64 v[64:65], v[64:65], v[116:117], v[100:101]
	v_fma_f64 v[66:67], v[66:67], v[116:117], -v[102:103]
	;; [unrolled: 2-line block ×4, first 2 shown]
	v_add_nc_u32_e32 v255, v12, v14
	v_add_nc_u16 v12, v0, 0x41
	ds_store_b128 v255, v[6:9]
	ds_store_b128 v255, v[40:43] offset:1040
	ds_store_b128 v255, v[44:47] offset:2080
	;; [unrolled: 1-line block ×9, first 2 shown]
	s_waitcnt lgkmcnt(0)
	s_waitcnt_vscnt null, 0x0
	s_barrier
	buffer_gl0_inv
	ds_load_b128 v[6:9], v255 offset:3120
	ds_load_b128 v[40:43], v255 offset:5200
	;; [unrolled: 1-line block ×5, first 2 shown]
	v_and_b32_e32 v13, 0xff, v12
	s_waitcnt lgkmcnt(3)
	v_add_f64 v[96:97], v[6:7], -v[40:41]
	s_waitcnt lgkmcnt(2)
	v_add_f64 v[1:2], v[40:41], v[44:45]
	s_waitcnt lgkmcnt(1)
	v_add_f64 v[10:11], v[8:9], v[50:51]
	v_add_f64 v[56:57], v[6:7], v[48:49]
	v_add_f64 v[68:69], v[42:43], v[46:47]
	v_add_f64 v[76:77], v[8:9], -v[50:51]
	v_add_f64 v[80:81], v[40:41], -v[44:45]
	;; [unrolled: 1-line block ×11, first 2 shown]
	s_waitcnt lgkmcnt(0)
	v_add_f64 v[6:7], v[52:53], v[6:7]
	v_add_f64 v[8:9], v[54:55], v[8:9]
	v_fma_f64 v[1:2], v[1:2], -0.5, v[52:53]
	v_fma_f64 v[10:11], v[10:11], -0.5, v[54:55]
	;; [unrolled: 1-line block ×4, first 2 shown]
	ds_load_b128 v[56:59], v255 offset:2080
	ds_load_b128 v[60:63], v255 offset:4160
	;; [unrolled: 1-line block ×4, first 2 shown]
	ds_load_b128 v[72:75], v255
	s_waitcnt lgkmcnt(0)
	s_barrier
	buffer_gl0_inv
	v_add_f64 v[6:7], v[6:7], v[40:41]
	v_add_f64 v[8:9], v[8:9], v[42:43]
	;; [unrolled: 1-line block ×8, first 2 shown]
	v_add_f64 v[122:123], v[58:59], -v[70:71]
	v_add_f64 v[124:125], v[62:63], -v[66:67]
	;; [unrolled: 1-line block ×4, first 2 shown]
	v_fma_f64 v[110:111], v[76:77], s[8:9], v[1:2]
	v_fma_f64 v[112:113], v[80:81], s[8:9], v[10:11]
	;; [unrolled: 1-line block ×8, first 2 shown]
	v_add_f64 v[6:7], v[6:7], v[44:45]
	v_add_f64 v[8:9], v[8:9], v[46:47]
	v_fma_f64 v[52:53], v[88:89], -0.5, v[72:73]
	v_fma_f64 v[72:73], v[90:91], -0.5, v[72:73]
	;; [unrolled: 1-line block ×4, first 2 shown]
	v_add_f64 v[90:91], v[96:97], v[98:99]
	v_add_f64 v[94:95], v[104:105], v[106:107]
	;; [unrolled: 1-line block ×3, first 2 shown]
	v_add_f64 v[106:107], v[58:59], -v[62:63]
	v_add_f64 v[58:59], v[62:63], -v[58:59]
	v_add_f64 v[62:63], v[126:127], v[62:63]
	v_add_f64 v[102:103], v[68:69], -v[64:65]
	v_add_f64 v[104:105], v[64:65], -v[68:69]
	v_fma_f64 v[96:97], v[78:79], s[2:3], v[110:111]
	v_fma_f64 v[98:99], v[84:85], s[12:13], v[112:113]
	;; [unrolled: 1-line block ×6, first 2 shown]
	v_add_f64 v[78:79], v[108:109], v[116:117]
	v_fma_f64 v[82:83], v[80:81], s[2:3], v[118:119]
	v_add_f64 v[84:85], v[56:57], -v[60:61]
	v_add_f64 v[56:57], v[60:61], -v[56:57]
	v_add_f64 v[60:61], v[120:121], v[60:61]
	v_add_f64 v[108:109], v[70:71], -v[66:67]
	v_add_f64 v[110:111], v[66:67], -v[70:71]
	v_fma_f64 v[80:81], v[80:81], s[12:13], v[86:87]
	v_add_f64 v[6:7], v[6:7], v[48:49]
	v_add_f64 v[48:49], v[8:9], v[50:51]
	v_fma_f64 v[40:41], v[122:123], s[8:9], v[52:53]
	v_fma_f64 v[42:43], v[122:123], s[14:15], v[52:53]
	;; [unrolled: 1-line block ×8, first 2 shown]
	v_add_f64 v[62:63], v[62:63], v[66:67]
	v_fma_f64 v[86:87], v[90:91], s[16:17], v[96:97]
	v_fma_f64 v[96:97], v[94:95], s[16:17], v[98:99]
	;; [unrolled: 1-line block ×7, first 2 shown]
	v_add_f64 v[84:85], v[84:85], v[102:103]
	v_add_f64 v[56:57], v[56:57], v[104:105]
	;; [unrolled: 1-line block ×5, first 2 shown]
	v_fma_f64 v[40:41], v[124:125], s[2:3], v[40:41]
	v_fma_f64 v[42:43], v[124:125], s[12:13], v[42:43]
	v_fma_f64 v[44:45], v[122:123], s[2:3], v[52:53]
	v_fma_f64 v[46:47], v[122:123], s[12:13], v[72:73]
	v_fma_f64 v[52:53], v[54:55], s[12:13], v[112:113]
	v_fma_f64 v[64:65], v[128:129], s[12:13], v[114:115]
	v_fma_f64 v[66:67], v[128:129], s[2:3], v[74:75]
	v_fma_f64 v[72:73], v[78:79], s[16:17], v[80:81]
	v_fma_f64 v[54:55], v[54:55], s[2:3], v[88:89]
	v_add_f64 v[62:63], v[62:63], v[70:71]
	v_mul_f64 v[74:75], v[86:87], s[18:19]
	v_mul_f64 v[78:79], v[96:97], s[8:9]
	;; [unrolled: 1-line block ×8, first 2 shown]
	v_add_f64 v[60:61], v[60:61], v[68:69]
	v_fma_f64 v[68:69], v[84:85], s[16:17], v[40:41]
	v_fma_f64 v[70:71], v[84:85], s[16:17], v[42:43]
	;; [unrolled: 1-line block ×8, first 2 shown]
	v_add_f64 v[42:43], v[62:63], -v[48:49]
	v_fma_f64 v[64:65], v[72:73], s[2:3], v[74:75]
	v_fma_f64 v[66:67], v[76:77], s[16:17], v[78:79]
	;; [unrolled: 1-line block ×3, first 2 shown]
	v_fma_f64 v[74:75], v[10:11], s[8:9], -v[80:81]
	v_fma_f64 v[80:81], v[96:97], s[16:17], v[92:93]
	v_fma_f64 v[76:77], v[82:83], s[2:3], -v[88:89]
	v_fma_f64 v[82:83], v[98:99], s[14:15], -v[94:95]
	;; [unrolled: 1-line block ×3, first 2 shown]
	v_add_f64 v[10:11], v[62:63], v[48:49]
	v_add_f64 v[8:9], v[60:61], v[6:7]
	v_add_f64 v[40:41], v[60:61], -v[6:7]
	v_add_f64 v[44:45], v[68:69], v[64:65]
	v_add_f64 v[48:49], v[84:85], v[66:67]
	v_add_f64 v[46:47], v[104:105], v[78:79]
	v_add_f64 v[52:53], v[102:103], v[74:75]
	v_add_f64 v[50:51], v[106:107], v[80:81]
	v_add_f64 v[56:57], v[70:71], v[76:77]
	v_add_f64 v[54:55], v[108:109], v[82:83]
	v_add_f64 v[58:59], v[90:91], v[1:2]
	v_add_f64 v[60:61], v[68:69], -v[64:65]
	v_add_f64 v[62:63], v[104:105], -v[78:79]
	;; [unrolled: 1-line block ×8, first 2 shown]
	v_mul_lo_u16 v1, 0xcd, v13
	v_mul_lo_u16 v2, v3, 10
	s_delay_alu instid0(VALU_DEP_2) | instskip(NEXT) | instid1(VALU_DEP_2)
	v_lshrrev_b16 v6, 11, v1
	v_sub_nc_u16 v2, v0, v2
	v_mul_lo_u16 v1, v0, 10
	s_delay_alu instid0(VALU_DEP_3) | instskip(NEXT) | instid1(VALU_DEP_3)
	v_mul_lo_u16 v7, v6, 10
	v_and_b32_e32 v13, 0xff, v2
	s_delay_alu instid0(VALU_DEP_3) | instskip(NEXT) | instid1(VALU_DEP_3)
	v_and_b32_e32 v1, 0xffff, v1
	v_sub_nc_u16 v2, v12, v7
	s_delay_alu instid0(VALU_DEP_2) | instskip(NEXT) | instid1(VALU_DEP_4)
	v_lshl_add_u32 v7, v1, 4, v14
	v_lshlrev_b32_e32 v1, 6, v13
	ds_store_b128 v7, v[8:11]
	ds_store_b128 v7, v[44:47] offset:16
	ds_store_b128 v7, v[48:51] offset:32
	;; [unrolled: 1-line block ×9, first 2 shown]
	v_and_b32_e32 v12, 0xff, v2
	s_waitcnt lgkmcnt(0)
	s_barrier
	buffer_gl0_inv
	s_clause 0x2
	global_load_b128 v[60:63], v1, s[10:11]
	global_load_b128 v[52:55], v1, s[10:11] offset:16
	global_load_b128 v[48:51], v1, s[10:11] offset:32
	v_lshlrev_b32_e32 v2, 6, v12
	s_clause 0x4
	global_load_b128 v[56:59], v1, s[10:11] offset:48
	global_load_b128 v[64:67], v2, s[10:11]
	global_load_b128 v[76:79], v2, s[10:11] offset:16
	global_load_b128 v[72:75], v2, s[10:11] offset:32
	;; [unrolled: 1-line block ×3, first 2 shown]
	ds_load_b128 v[8:11], v255 offset:2080
	ds_load_b128 v[40:43], v255 offset:4160
	;; [unrolled: 1-line block ×8, first 2 shown]
	scratch_store_b32 off, v14, off offset:164 ; 4-byte Folded Spill
	s_waitcnt vmcnt(7) lgkmcnt(7)
	v_mul_f64 v[1:2], v[10:11], v[62:63]
	s_waitcnt vmcnt(6) lgkmcnt(6)
	v_mul_f64 v[100:101], v[42:43], v[54:55]
	s_waitcnt vmcnt(5) lgkmcnt(5)
	v_mul_f64 v[102:103], v[46:47], v[50:51]
	v_mul_f64 v[104:105], v[8:9], v[62:63]
	s_waitcnt vmcnt(4) lgkmcnt(4)
	v_mul_f64 v[106:107], v[82:83], v[58:59]
	v_mul_f64 v[108:109], v[40:41], v[54:55]
	;; [unrolled: 1-line block ×4, first 2 shown]
	s_waitcnt vmcnt(3) lgkmcnt(3)
	v_mul_f64 v[114:115], v[86:87], v[66:67]
	s_waitcnt vmcnt(2) lgkmcnt(2)
	v_mul_f64 v[116:117], v[90:91], v[78:79]
	;; [unrolled: 2-line block ×3, first 2 shown]
	v_mul_f64 v[120:121], v[88:89], v[78:79]
	s_waitcnt vmcnt(0) lgkmcnt(0)
	v_mul_f64 v[122:123], v[98:99], v[70:71]
	v_mul_f64 v[124:125], v[92:93], v[74:75]
	;; [unrolled: 1-line block ×4, first 2 shown]
	v_fma_f64 v[1:2], v[8:9], v[60:61], -v[1:2]
	v_fma_f64 v[100:101], v[40:41], v[52:53], -v[100:101]
	;; [unrolled: 1-line block ×3, first 2 shown]
	v_fma_f64 v[102:103], v[10:11], v[60:61], v[104:105]
	v_fma_f64 v[80:81], v[80:81], v[56:57], -v[106:107]
	v_fma_f64 v[104:105], v[42:43], v[52:53], v[108:109]
	v_fma_f64 v[46:47], v[46:47], v[48:49], v[110:111]
	;; [unrolled: 1-line block ×3, first 2 shown]
	v_fma_f64 v[84:85], v[84:85], v[64:65], -v[114:115]
	v_fma_f64 v[88:89], v[88:89], v[76:77], -v[116:117]
	;; [unrolled: 1-line block ×3, first 2 shown]
	v_fma_f64 v[90:91], v[90:91], v[76:77], v[120:121]
	v_fma_f64 v[96:97], v[96:97], v[68:69], -v[122:123]
	v_fma_f64 v[94:95], v[94:95], v[72:73], v[124:125]
	v_fma_f64 v[86:87], v[86:87], v[64:65], v[126:127]
	;; [unrolled: 1-line block ×3, first 2 shown]
	ds_load_b128 v[8:11], v255
	ds_load_b128 v[40:43], v255 offset:1040
	s_waitcnt lgkmcnt(0)
	s_waitcnt_vscnt null, 0x0
	s_barrier
	buffer_gl0_inv
	v_add_f64 v[122:123], v[8:9], v[1:2]
	v_add_f64 v[106:107], v[100:101], v[44:45]
	;; [unrolled: 1-line block ×4, first 2 shown]
	v_add_f64 v[134:135], v[1:2], -v[80:81]
	v_add_f64 v[110:111], v[104:105], v[46:47]
	v_add_f64 v[112:113], v[102:103], v[82:83]
	v_add_f64 v[124:125], v[102:103], -v[82:83]
	v_add_f64 v[126:127], v[104:105], -v[46:47]
	v_add_f64 v[114:115], v[88:89], v[92:93]
	v_add_f64 v[130:131], v[40:41], v[84:85]
	;; [unrolled: 1-line block ×6, first 2 shown]
	v_add_f64 v[138:139], v[86:87], -v[98:99]
	v_add_f64 v[141:142], v[84:85], -v[96:97]
	;; [unrolled: 1-line block ×16, first 2 shown]
	v_fma_f64 v[106:107], v[106:107], -0.5, v[8:9]
	v_add_f64 v[104:105], v[128:129], v[104:105]
	v_fma_f64 v[8:9], v[108:109], -0.5, v[8:9]
	v_add_f64 v[108:109], v[100:101], -v[44:45]
	v_fma_f64 v[110:111], v[110:111], -0.5, v[10:11]
	v_fma_f64 v[10:11], v[112:113], -0.5, v[10:11]
	v_add_f64 v[112:113], v[90:91], -v[94:95]
	v_fma_f64 v[114:115], v[114:115], -0.5, v[40:41]
	;; [unrolled: 3-line block ×3, first 2 shown]
	v_fma_f64 v[42:43], v[120:121], -0.5, v[42:43]
	v_add_f64 v[120:121], v[1:2], -v[100:101]
	v_add_f64 v[1:2], v[100:101], -v[1:2]
	v_add_f64 v[100:101], v[122:123], v[100:101]
	v_add_f64 v[88:89], v[130:131], v[88:89]
	;; [unrolled: 1-line block ×6, first 2 shown]
	v_fma_f64 v[122:123], v[124:125], s[8:9], v[106:107]
	v_fma_f64 v[106:107], v[124:125], s[14:15], v[106:107]
	;; [unrolled: 1-line block ×16, first 2 shown]
	v_add_f64 v[120:121], v[120:121], v[143:144]
	v_add_f64 v[1:2], v[1:2], v[145:146]
	;; [unrolled: 1-line block ×9, first 2 shown]
	v_fma_f64 v[92:93], v[126:127], s[2:3], v[122:123]
	v_fma_f64 v[94:95], v[126:127], s[12:13], v[106:107]
	;; [unrolled: 1-line block ×16, first 2 shown]
	s_load_b64 s[2:3], s[0:1], 0x38
	v_add_f64 v[132:133], v[44:45], v[80:81]
	v_add_f64 v[134:135], v[46:47], v[82:83]
	;; [unrolled: 1-line block ×4, first 2 shown]
                                        ; implicit-def: $vgpr96_vgpr97
	v_fma_f64 v[40:41], v[120:121], s[16:17], v[92:93]
	v_fma_f64 v[108:109], v[120:121], s[16:17], v[94:95]
	;; [unrolled: 1-line block ×16, first 2 shown]
	v_and_b32_e32 v1, 0xffff, v3
	v_and_b32_e32 v2, 0xffff, v6
                                        ; implicit-def: $vgpr120_vgpr121
                                        ; implicit-def: $vgpr100_vgpr101
	s_delay_alu instid0(VALU_DEP_2) | instskip(NEXT) | instid1(VALU_DEP_2)
	v_mul_u32_u24_e32 v1, 50, v1
	v_mul_u32_u24_e32 v2, 50, v2
	s_delay_alu instid0(VALU_DEP_2) | instskip(NEXT) | instid1(VALU_DEP_2)
	v_add_nc_u32_e32 v1, v1, v13
	v_add_nc_u32_e32 v2, v2, v12
	s_delay_alu instid0(VALU_DEP_2) | instskip(NEXT) | instid1(VALU_DEP_2)
	v_lshl_add_u32 v8, v1, 4, v14
	v_lshl_add_u32 v6, v2, 4, v14
	ds_store_b128 v8, v[132:135]
	ds_store_b128 v8, v[40:43] offset:160
	ds_store_b128 v8, v[88:91] offset:320
	ds_store_b128 v8, v[92:95] offset:480
	ds_store_b128 v8, v[108:111] offset:640
	ds_store_b128 v6, v[112:115]
	ds_store_b128 v6, v[104:107] offset:160
	ds_store_b128 v6, v[124:127] offset:320
	;; [unrolled: 1-line block ×4, first 2 shown]
	s_waitcnt lgkmcnt(0)
	s_barrier
	buffer_gl0_inv
	s_and_saveexec_b32 s0, vcc_lo
	s_cbranch_execz .LBB0_3
; %bb.2:
	ds_load_b128 v[132:135], v255
	ds_load_b128 v[40:43], v255 offset:800
	ds_load_b128 v[88:91], v255 offset:1600
	;; [unrolled: 1-line block ×12, first 2 shown]
.LBB0_3:
	s_or_b32 exec_lo, exec_lo, s0
	scratch_load_b32 v1, off, off           ; 4-byte Folded Reload
	s_mov_b32 s12, 0x4267c47c
	s_mov_b32 s13, 0xbfddbe06
	;; [unrolled: 1-line block ×28, first 2 shown]
	s_waitcnt vmcnt(0)
	v_subrev_nc_u32_e32 v0, 50, v1
	s_delay_alu instid0(VALU_DEP_1) | instskip(NEXT) | instid1(VALU_DEP_1)
	v_cndmask_b32_e32 v0, v0, v1, vcc_lo
	v_mul_i32_i24_e32 v1, 0xc0, v0
	v_mul_hi_i32_i24_e32 v2, 0xc0, v0
	s_delay_alu instid0(VALU_DEP_2) | instskip(NEXT) | instid1(VALU_DEP_1)
	v_add_co_u32 v0, s0, s10, v1
	v_add_co_ci_u32_e64 v1, s0, s11, v2, s0
	s_mov_b32 s10, 0x42a4c3d2
	s_mov_b32 s11, 0xbfea55e2
	;; [unrolled: 1-line block ×3, first 2 shown]
	s_clause 0x1
	global_load_b128 v[44:47], v[0:1], off offset:640
	global_load_b128 v[80:83], v[0:1], off offset:656
	s_mov_b32 s1, 0x3fe22d96
	s_waitcnt vmcnt(1) lgkmcnt(11)
	v_mul_f64 v[2:3], v[42:43], v[46:47]
	s_delay_alu instid0(VALU_DEP_1) | instskip(SKIP_1) | instid1(VALU_DEP_1)
	v_fma_f64 v[235:236], v[40:41], v[44:45], -v[2:3]
	v_mul_f64 v[2:3], v[40:41], v[46:47]
	v_fma_f64 v[231:232], v[42:43], v[44:45], v[2:3]
	s_clause 0x1
	global_load_b128 v[40:43], v[0:1], off offset:816
	global_load_b128 v[84:87], v[0:1], off offset:800
	s_waitcnt vmcnt(1) lgkmcnt(0)
	v_mul_f64 v[2:3], v[100:101], v[42:43]
	s_delay_alu instid0(VALU_DEP_1) | instskip(SKIP_1) | instid1(VALU_DEP_2)
	v_fma_f64 v[11:12], v[102:103], v[40:41], v[2:3]
	v_mul_f64 v[2:3], v[102:103], v[42:43]
	v_add_f64 v[155:156], v[231:232], -v[11:12]
	s_delay_alu instid0(VALU_DEP_2) | instskip(SKIP_2) | instid1(VALU_DEP_4)
	v_fma_f64 v[13:14], v[100:101], v[40:41], -v[2:3]
	v_mul_f64 v[2:3], v[90:91], v[82:83]
	v_add_f64 v[157:158], v[231:232], v[11:12]
	v_mul_f64 v[136:137], v[155:156], s[12:13]
	s_delay_alu instid0(VALU_DEP_4) | instskip(NEXT) | instid1(VALU_DEP_4)
	v_add_f64 v[153:154], v[235:236], v[13:14]
	v_fma_f64 v[19:20], v[88:89], v[80:81], -v[2:3]
	v_mul_f64 v[2:3], v[88:89], v[82:83]
	v_add_f64 v[161:162], v[235:236], -v[13:14]
	v_mul_f64 v[163:164], v[155:156], s[10:11]
	s_delay_alu instid0(VALU_DEP_3) | instskip(SKIP_2) | instid1(VALU_DEP_4)
	v_fma_f64 v[21:22], v[90:91], v[80:81], v[2:3]
	s_waitcnt vmcnt(0)
	v_mul_f64 v[2:3], v[96:97], v[86:87]
	v_mul_f64 v[159:160], v[161:162], s[12:13]
	;; [unrolled: 1-line block ×3, first 2 shown]
	s_delay_alu instid0(VALU_DEP_3) | instskip(SKIP_1) | instid1(VALU_DEP_2)
	v_fma_f64 v[15:16], v[98:99], v[84:85], v[2:3]
	v_mul_f64 v[2:3], v[98:99], v[86:87]
	v_add_f64 v[195:196], v[21:22], -v[15:16]
	s_delay_alu instid0(VALU_DEP_2)
	v_fma_f64 v[17:18], v[96:97], v[84:85], -v[2:3]
	s_clause 0x1
	global_load_b128 v[88:91], v[0:1], off offset:672
	global_load_b128 v[96:99], v[0:1], off offset:688
	v_add_f64 v[187:188], v[21:22], v[15:16]
	v_mul_f64 v[205:206], v[195:196], s[10:11]
	v_add_f64 v[183:184], v[19:20], v[17:18]
	v_add_f64 v[197:198], v[19:20], -v[17:18]
	s_delay_alu instid0(VALU_DEP_1) | instskip(NEXT) | instid1(VALU_DEP_1)
	v_mul_f64 v[211:212], v[197:198], s[10:11]
	v_fma_f64 v[9:10], v[187:188], s[0:1], -v[211:212]
	s_waitcnt vmcnt(1)
	v_mul_f64 v[2:3], v[94:95], v[90:91]
	s_delay_alu instid0(VALU_DEP_1) | instskip(SKIP_1) | instid1(VALU_DEP_1)
	v_fma_f64 v[23:24], v[92:93], v[88:89], -v[2:3]
	v_mul_f64 v[2:3], v[92:93], v[90:91]
	v_fma_f64 v[25:26], v[94:95], v[88:89], v[2:3]
	s_clause 0x1
	global_load_b128 v[92:95], v[0:1], off offset:784
	global_load_b128 v[100:103], v[0:1], off offset:768
	s_waitcnt vmcnt(1)
	v_mul_f64 v[2:3], v[122:123], v[94:95]
	s_delay_alu instid0(VALU_DEP_1) | instskip(SKIP_1) | instid1(VALU_DEP_2)
	v_fma_f64 v[27:28], v[120:121], v[92:93], -v[2:3]
	v_mul_f64 v[2:3], v[120:121], v[94:95]
	v_add_f64 v[191:192], v[23:24], v[27:28]
	s_delay_alu instid0(VALU_DEP_2) | instskip(SKIP_2) | instid1(VALU_DEP_3)
	v_fma_f64 v[29:30], v[122:123], v[92:93], v[2:3]
	v_mul_f64 v[2:3], v[110:111], v[98:99]
	v_add_f64 v[217:218], v[23:24], -v[27:28]
	v_add_f64 v[207:208], v[25:26], -v[29:30]
	s_delay_alu instid0(VALU_DEP_3)
	v_fma_f64 v[35:36], v[108:109], v[96:97], -v[2:3]
	v_mul_f64 v[2:3], v[108:109], v[98:99]
	v_add_f64 v[203:204], v[25:26], v[29:30]
	v_mul_f64 v[225:226], v[217:218], s[18:19]
	v_mul_f64 v[193:194], v[217:218], s[28:29]
	;; [unrolled: 1-line block ×5, first 2 shown]
	v_fma_f64 v[37:38], v[110:111], v[96:97], v[2:3]
	s_waitcnt vmcnt(0)
	v_mul_f64 v[2:3], v[118:119], v[102:103]
	v_mul_f64 v[143:144], v[207:208], s[38:39]
	s_delay_alu instid0(VALU_DEP_2) | instskip(SKIP_1) | instid1(VALU_DEP_2)
	v_fma_f64 v[31:32], v[116:117], v[100:101], -v[2:3]
	v_mul_f64 v[2:3], v[116:117], v[102:103]
	v_add_f64 v[199:200], v[35:36], v[31:32]
	s_delay_alu instid0(VALU_DEP_2)
	v_fma_f64 v[33:34], v[118:119], v[100:101], v[2:3]
	s_clause 0x1
	global_load_b128 v[108:111], v[0:1], off offset:704
	global_load_b128 v[116:119], v[0:1], off offset:720
	v_add_f64 v[227:228], v[35:36], -v[31:32]
	v_add_f64 v[233:234], v[37:38], -v[33:34]
	v_add_f64 v[209:210], v[37:38], v[33:34]
	s_delay_alu instid0(VALU_DEP_3)
	v_mul_f64 v[251:252], v[227:228], s[22:23]
	v_mul_f64 v[201:202], v[227:228], s[30:31]
	;; [unrolled: 1-line block ×6, first 2 shown]
	s_waitcnt vmcnt(1)
	v_mul_f64 v[2:3], v[114:115], v[110:111]
	s_delay_alu instid0(VALU_DEP_1) | instskip(SKIP_1) | instid1(VALU_DEP_1)
	v_fma_f64 v[167:168], v[112:113], v[108:109], -v[2:3]
	v_mul_f64 v[2:3], v[112:113], v[110:111]
	v_fma_f64 v[169:170], v[114:115], v[108:109], v[2:3]
	s_clause 0x1
	global_load_b128 v[112:115], v[0:1], off offset:752
	global_load_b128 v[120:123], v[0:1], off offset:736
	v_fma_f64 v[2:3], v[183:184], s[0:1], v[205:206]
	s_waitcnt vmcnt(1)
	v_mul_f64 v[0:1], v[130:131], v[114:115]
	s_delay_alu instid0(VALU_DEP_1) | instskip(SKIP_1) | instid1(VALU_DEP_2)
	v_fma_f64 v[171:172], v[128:129], v[112:113], -v[0:1]
	v_mul_f64 v[0:1], v[128:129], v[114:115]
	v_add_f64 v[213:214], v[167:168], v[171:172]
	s_delay_alu instid0(VALU_DEP_2) | instskip(SKIP_3) | instid1(VALU_DEP_4)
	v_fma_f64 v[173:174], v[130:131], v[112:113], v[0:1]
	v_mul_f64 v[0:1], v[106:107], v[118:119]
	v_add_f64 v[237:238], v[167:168], -v[171:172]
	v_mul_f64 v[130:131], v[197:198], s[28:29]
	v_add_f64 v[241:242], v[169:170], -v[173:174]
	s_delay_alu instid0(VALU_DEP_4)
	v_fma_f64 v[175:176], v[104:105], v[116:117], -v[0:1]
	v_mul_f64 v[0:1], v[104:105], v[118:119]
	v_add_f64 v[223:224], v[169:170], v[173:174]
	v_mul_f64 v[138:139], v[237:238], s[34:35]
	v_mul_f64 v[151:152], v[237:238], s[10:11]
	scratch_store_b64 off, v[130:131], off offset:232 ; 8-byte Folded Spill
	v_fma_f64 v[130:131], v[187:188], s[24:25], -v[130:131]
	v_mul_f64 v[253:254], v[241:242], s[26:27]
	v_mul_f64 v[147:148], v[241:242], s[10:11]
	v_fma_f64 v[179:180], v[106:107], v[116:117], v[0:1]
	s_waitcnt vmcnt(0)
	v_mul_f64 v[0:1], v[126:127], v[122:123]
	s_delay_alu instid0(VALU_DEP_1) | instskip(SKIP_1) | instid1(VALU_DEP_2)
	v_fma_f64 v[177:178], v[124:125], v[120:121], -v[0:1]
	v_mul_f64 v[0:1], v[124:125], v[122:123]
	v_add_f64 v[219:220], v[175:176], v[177:178]
	s_delay_alu instid0(VALU_DEP_2) | instskip(SKIP_2) | instid1(VALU_DEP_3)
	v_fma_f64 v[181:182], v[126:127], v[120:121], v[0:1]
	v_fma_f64 v[0:1], v[153:154], s[8:9], v[136:137]
	v_add_f64 v[243:244], v[175:176], -v[177:178]
	v_add_f64 v[245:246], v[179:180], -v[181:182]
	s_delay_alu instid0(VALU_DEP_3) | instskip(SKIP_1) | instid1(VALU_DEP_4)
	v_add_f64 v[0:1], v[132:133], v[0:1]
	v_add_f64 v[229:230], v[179:180], v[181:182]
	v_mul_f64 v[189:190], v[243:244], s[36:37]
	v_mul_f64 v[185:186], v[243:244], s[26:27]
	s_delay_alu instid0(VALU_DEP_4) | instskip(SKIP_1) | instid1(VALU_DEP_1)
	v_add_f64 v[0:1], v[2:3], v[0:1]
	v_fma_f64 v[2:3], v[157:158], s[8:9], -v[159:160]
	v_add_f64 v[2:3], v[134:135], v[2:3]
	s_delay_alu instid0(VALU_DEP_1) | instskip(SKIP_1) | instid1(VALU_DEP_1)
	v_add_f64 v[2:3], v[9:10], v[2:3]
	v_fma_f64 v[9:10], v[191:192], s[14:15], v[215:216]
	v_add_f64 v[0:1], v[9:10], v[0:1]
	v_fma_f64 v[9:10], v[203:204], s[14:15], -v[225:226]
	s_delay_alu instid0(VALU_DEP_1) | instskip(SKIP_1) | instid1(VALU_DEP_1)
	v_add_f64 v[2:3], v[9:10], v[2:3]
	v_fma_f64 v[9:10], v[199:200], s[16:17], v[221:222]
	v_add_f64 v[0:1], v[9:10], v[0:1]
	v_fma_f64 v[9:10], v[209:210], s[16:17], -v[251:252]
	s_delay_alu instid0(VALU_DEP_1) | instskip(SKIP_1) | instid1(VALU_DEP_1)
	v_add_f64 v[2:3], v[9:10], v[2:3]
	v_fma_f64 v[9:10], v[213:214], s[20:21], v[253:254]
	v_add_f64 v[0:1], v[9:10], v[0:1]
	v_mul_f64 v[9:10], v[237:238], s[26:27]
	scratch_store_b64 off, v[9:10], off offset:176 ; 8-byte Folded Spill
	v_fma_f64 v[9:10], v[223:224], s[20:21], -v[9:10]
	s_delay_alu instid0(VALU_DEP_1) | instskip(SKIP_3) | instid1(VALU_DEP_1)
	v_add_f64 v[2:3], v[9:10], v[2:3]
	v_mul_f64 v[9:10], v[245:246], s[28:29]
	scratch_store_b64 off, v[9:10], off offset:168 ; 8-byte Folded Spill
	v_fma_f64 v[9:10], v[219:220], s[24:25], v[9:10]
	v_add_f64 v[104:105], v[9:10], v[0:1]
	v_mul_f64 v[0:1], v[243:244], s[28:29]
	v_mul_f64 v[9:10], v[197:198], s[22:23]
	s_clause 0x1
	scratch_store_b64 off, v[0:1], off offset:184
	scratch_store_b64 off, v[9:10], off offset:200
	v_fma_f64 v[0:1], v[229:230], s[24:25], -v[0:1]
	v_fma_f64 v[9:10], v[187:188], s[16:17], -v[9:10]
	s_delay_alu instid0(VALU_DEP_2) | instskip(SKIP_2) | instid1(VALU_DEP_2)
	v_add_f64 v[106:107], v[0:1], v[2:3]
	v_fma_f64 v[0:1], v[153:154], s[0:1], v[163:164]
	v_mul_f64 v[2:3], v[195:196], s[22:23]
	v_add_f64 v[0:1], v[132:133], v[0:1]
	scratch_store_b64 off, v[2:3], off offset:192 ; 8-byte Folded Spill
	v_fma_f64 v[2:3], v[183:184], s[16:17], v[2:3]
	s_delay_alu instid0(VALU_DEP_1) | instskip(SKIP_1) | instid1(VALU_DEP_1)
	v_add_f64 v[0:1], v[2:3], v[0:1]
	v_fma_f64 v[2:3], v[157:158], s[0:1], -v[165:166]
	v_add_f64 v[2:3], v[134:135], v[2:3]
	s_delay_alu instid0(VALU_DEP_1) | instskip(SKIP_1) | instid1(VALU_DEP_1)
	v_add_f64 v[2:3], v[9:10], v[2:3]
	v_fma_f64 v[9:10], v[191:192], s[24:25], v[247:248]
	v_add_f64 v[0:1], v[9:10], v[0:1]
	v_fma_f64 v[9:10], v[203:204], s[24:25], -v[193:194]
	s_delay_alu instid0(VALU_DEP_1) | instskip(SKIP_1) | instid1(VALU_DEP_1)
	v_add_f64 v[2:3], v[9:10], v[2:3]
	v_fma_f64 v[9:10], v[199:200], s[20:21], v[249:250]
	v_add_f64 v[0:1], v[9:10], v[0:1]
	v_fma_f64 v[9:10], v[209:210], s[20:21], -v[201:202]
	s_delay_alu instid0(VALU_DEP_1) | instskip(SKIP_3) | instid1(VALU_DEP_1)
	v_add_f64 v[2:3], v[9:10], v[2:3]
	v_mul_f64 v[9:10], v[241:242], s[34:35]
	scratch_store_b64 off, v[9:10], off offset:216 ; 8-byte Folded Spill
	v_fma_f64 v[9:10], v[213:214], s[14:15], v[9:10]
	v_add_f64 v[0:1], v[9:10], v[0:1]
	v_fma_f64 v[9:10], v[223:224], s[14:15], -v[138:139]
	s_delay_alu instid0(VALU_DEP_1) | instskip(SKIP_3) | instid1(VALU_DEP_1)
	v_add_f64 v[2:3], v[9:10], v[2:3]
	v_mul_f64 v[9:10], v[245:246], s[36:37]
	scratch_store_b64 off, v[9:10], off offset:224 ; 8-byte Folded Spill
	v_fma_f64 v[9:10], v[219:220], s[8:9], v[9:10]
	v_add_f64 v[124:125], v[9:10], v[0:1]
	v_fma_f64 v[0:1], v[229:230], s[8:9], -v[189:190]
	v_mul_f64 v[9:10], v[195:196], s[28:29]
	s_delay_alu instid0(VALU_DEP_2) | instskip(SKIP_4) | instid1(VALU_DEP_1)
	v_add_f64 v[126:127], v[0:1], v[2:3]
	v_mul_f64 v[0:1], v[155:156], s[18:19]
	scratch_store_b64 off, v[9:10], off offset:208 ; 8-byte Folded Spill
	v_fma_f64 v[9:10], v[183:184], s[24:25], v[9:10]
	v_fma_f64 v[2:3], v[153:154], s[14:15], v[0:1]
	v_add_f64 v[2:3], v[132:133], v[2:3]
	s_delay_alu instid0(VALU_DEP_1) | instskip(SKIP_1) | instid1(VALU_DEP_1)
	v_add_f64 v[9:10], v[9:10], v[2:3]
	v_mul_f64 v[2:3], v[161:162], s[18:19]
	v_fma_f64 v[128:129], v[157:158], s[14:15], -v[2:3]
	s_delay_alu instid0(VALU_DEP_1) | instskip(NEXT) | instid1(VALU_DEP_1)
	v_add_f64 v[128:129], v[134:135], v[128:129]
	v_add_f64 v[128:129], v[130:131], v[128:129]
	v_fma_f64 v[130:131], v[191:192], s[16:17], v[143:144]
	s_delay_alu instid0(VALU_DEP_1) | instskip(SKIP_1) | instid1(VALU_DEP_1)
	v_add_f64 v[9:10], v[130:131], v[9:10]
	v_fma_f64 v[130:131], v[203:204], s[16:17], -v[141:142]
	v_add_f64 v[128:129], v[130:131], v[128:129]
	v_fma_f64 v[130:131], v[199:200], s[8:9], v[145:146]
	s_delay_alu instid0(VALU_DEP_1) | instskip(SKIP_1) | instid1(VALU_DEP_1)
	v_add_f64 v[9:10], v[130:131], v[9:10]
	v_fma_f64 v[130:131], v[209:210], s[8:9], -v[149:150]
	;; [unrolled: 5-line block ×3, first 2 shown]
	v_add_f64 v[130:131], v[130:131], v[128:129]
	v_mul_f64 v[128:129], v[245:246], s[26:27]
	scratch_store_b64 off, v[128:129], off offset:240 ; 8-byte Folded Spill
	v_fma_f64 v[128:129], v[219:220], s[20:21], v[128:129]
	s_delay_alu instid0(VALU_DEP_1) | instskip(SKIP_1) | instid1(VALU_DEP_1)
	v_add_f64 v[128:129], v[128:129], v[9:10]
	v_fma_f64 v[9:10], v[229:230], s[20:21], -v[185:186]
	v_add_f64 v[130:131], v[9:10], v[130:131]
	s_and_saveexec_b32 s33, vcc_lo
	s_cbranch_execz .LBB0_5
; %bb.4:
	v_mul_f64 v[9:10], v[157:158], s[24:25]
	s_clause 0x3
	scratch_store_b64 off, v[11:12], off offset:248
	scratch_store_b64 off, v[13:14], off offset:256
	;; [unrolled: 1-line block ×4, first 2 shown]
	v_mul_f64 v[13:14], v[157:158], s[20:21]
	v_mul_f64 v[17:18], v[157:158], s[16:17]
	s_clause 0x3
	scratch_store_b64 off, v[19:20], off offset:280
	scratch_store_b64 off, v[21:22], off offset:288
	;; [unrolled: 1-line block ×4, first 2 shown]
	v_mul_f64 v[21:22], v[157:158], s[14:15]
	s_mov_b32 s41, 0x3fcea1e5
	s_mov_b32 s40, s28
	;; [unrolled: 1-line block ×4, first 2 shown]
	s_clause 0x1
	scratch_store_b64 off, v[27:28], off offset:328
	scratch_store_b64 off, v[31:32], off offset:384
	v_mul_f64 v[31:32], v[229:230], s[14:15]
	v_fma_f64 v[11:12], v[161:162], s[40:41], v[9:10]
	v_fma_f64 v[9:10], v[161:162], s[28:29], v[9:10]
	;; [unrolled: 1-line block ×6, first 2 shown]
	v_mul_f64 v[161:162], v[153:154], s[0:1]
	v_add_f64 v[2:3], v[2:3], v[21:22]
	v_mul_f64 v[21:22], v[153:154], s[14:15]
	v_add_f64 v[11:12], v[134:135], v[11:12]
	v_add_f64 v[9:10], v[134:135], v[9:10]
	;; [unrolled: 1-line block ×5, first 2 shown]
	v_add_f64 v[161:162], v[161:162], -v[163:164]
	v_mul_f64 v[163:164], v[155:156], s[26:27]
	v_add_f64 v[0:1], v[21:22], -v[0:1]
	v_mul_f64 v[21:22], v[157:158], s[0:1]
	v_mul_f64 v[157:158], v[157:158], s[8:9]
	scratch_store_b64 off, v[13:14], off offset:376 ; 8-byte Folded Spill
	v_fma_f64 v[25:26], v[153:154], s[20:21], -v[163:164]
	v_fma_f64 v[23:24], v[153:154], s[20:21], v[163:164]
	v_add_f64 v[27:28], v[132:133], v[0:1]
	v_add_f64 v[21:22], v[165:166], v[21:22]
	;; [unrolled: 1-line block ×3, first 2 shown]
	v_mul_f64 v[159:160], v[155:156], s[28:29]
	v_mul_f64 v[155:156], v[155:156], s[22:23]
	v_add_f64 v[13:14], v[132:133], v[25:26]
	v_add_f64 v[23:24], v[132:133], v[23:24]
	v_dual_mov_b32 v25, v173 :: v_dual_mov_b32 v26, v174
	v_add_f64 v[0:1], v[134:135], v[157:158]
	v_fma_f64 v[165:166], v[153:154], s[24:25], v[159:160]
	v_fma_f64 v[159:160], v[153:154], s[24:25], -v[159:160]
	v_fma_f64 v[163:164], v[153:154], s[16:17], v[155:156]
	v_fma_f64 v[155:156], v[153:154], s[16:17], -v[155:156]
	v_mul_f64 v[153:154], v[153:154], s[8:9]
	scratch_store_b64 off, v[29:30], off offset:336 ; 8-byte Folded Spill
	v_add_f64 v[29:30], v[132:133], v[161:162]
	v_add_f64 v[21:22], v[134:135], v[21:22]
	v_dual_mov_b32 v174, v38 :: v_dual_mov_b32 v173, v37
	scratch_store_b64 off, v[13:14], off offset:368 ; 8-byte Folded Spill
	v_add_f64 v[13:14], v[134:135], v[19:20]
	scratch_store_b64 off, v[0:1], off offset:344 ; 8-byte Folded Spill
	v_add_f64 v[165:166], v[132:133], v[165:166]
	v_add_f64 v[159:160], v[132:133], v[159:160]
	;; [unrolled: 1-line block ×4, first 2 shown]
	v_add_f64 v[153:154], v[153:154], -v[136:137]
	v_add_f64 v[136:137], v[134:135], v[231:232]
	v_dual_mov_b32 v232, v34 :: v_dual_mov_b32 v231, v33
	v_mul_f64 v[33:34], v[245:246], s[34:35]
	s_delay_alu instid0(VALU_DEP_4)
	v_add_f64 v[0:1], v[132:133], v[153:154]
	scratch_store_b64 off, v[136:137], off offset:312 ; 8-byte Folded Spill
	v_add_f64 v[136:137], v[132:133], v[235:236]
	scratch_store_b64 off, v[13:14], off offset:360 ; 8-byte Folded Spill
	v_mul_f64 v[132:133], v[187:188], s[8:9]
	v_add_f64 v[13:14], v[134:135], v[2:3]
	v_mul_f64 v[134:135], v[203:204], s[20:21]
	s_clause 0x1
	scratch_store_b64 off, v[0:1], off offset:352
	scratch_store_b64 off, v[136:137], off offset:320
	v_dual_mov_b32 v136, v171 :: v_dual_mov_b32 v137, v172
	v_fma_f64 v[0:1], v[197:198], s[12:13], v[132:133]
	v_fma_f64 v[153:154], v[217:218], s[30:31], v[134:135]
	;; [unrolled: 1-line block ×3, first 2 shown]
	v_dual_mov_b32 v172, v36 :: v_dual_mov_b32 v171, v35
	v_mul_f64 v[35:36], v[241:242], s[36:37]
	v_add_f64 v[0:1], v[0:1], v[11:12]
	v_mul_f64 v[11:12], v[195:196], s[36:37]
	v_add_f64 v[9:10], v[132:133], v[9:10]
	v_fma_f64 v[132:133], v[217:218], s[26:27], v[134:135]
	v_fma_f64 v[37:38], v[213:214], s[8:9], v[35:36]
	v_add_f64 v[0:1], v[153:154], v[0:1]
	v_fma_f64 v[2:3], v[183:184], s[8:9], v[11:12]
	v_mul_f64 v[153:154], v[207:208], s[26:27]
	v_fma_f64 v[11:12], v[183:184], s[8:9], -v[11:12]
	v_add_f64 v[9:10], v[132:133], v[9:10]
	s_delay_alu instid0(VALU_DEP_4) | instskip(NEXT) | instid1(VALU_DEP_4)
	v_add_f64 v[2:3], v[2:3], v[165:166]
	v_fma_f64 v[155:156], v[191:192], s[20:21], v[153:154]
	s_delay_alu instid0(VALU_DEP_4)
	v_add_f64 v[11:12], v[11:12], v[159:160]
	v_fma_f64 v[132:133], v[191:192], s[20:21], -v[153:154]
	scratch_load_b64 v[159:160], off, off offset:200 ; 8-byte Folded Reload
	v_add_f64 v[2:3], v[155:156], v[2:3]
	v_mul_f64 v[155:156], v[209:210], s[0:1]
	v_add_f64 v[11:12], v[132:133], v[11:12]
	s_delay_alu instid0(VALU_DEP_2) | instskip(SKIP_1) | instid1(VALU_DEP_2)
	v_fma_f64 v[157:158], v[227:228], s[10:11], v[155:156]
	v_fma_f64 v[132:133], v[227:228], s[42:43], v[155:156]
	v_add_f64 v[0:1], v[157:158], v[0:1]
	v_mul_f64 v[157:158], v[233:234], s[42:43]
	s_delay_alu instid0(VALU_DEP_3) | instskip(NEXT) | instid1(VALU_DEP_2)
	v_add_f64 v[9:10], v[132:133], v[9:10]
	v_fma_f64 v[161:162], v[199:200], s[0:1], v[157:158]
	v_fma_f64 v[132:133], v[199:200], s[0:1], -v[157:158]
	v_mul_f64 v[157:158], v[187:188], s[16:17]
	s_delay_alu instid0(VALU_DEP_3) | instskip(SKIP_1) | instid1(VALU_DEP_4)
	v_add_f64 v[2:3], v[161:162], v[2:3]
	v_mul_f64 v[161:162], v[223:224], s[16:17]
	v_add_f64 v[11:12], v[132:133], v[11:12]
	s_delay_alu instid0(VALU_DEP_2) | instskip(SKIP_2) | instid1(VALU_DEP_3)
	v_fma_f64 v[165:166], v[237:238], s[38:39], v[161:162]
	v_fma_f64 v[132:133], v[237:238], s[22:23], v[161:162]
	v_mul_f64 v[161:162], v[209:210], s[24:25]
	v_add_f64 v[0:1], v[165:166], v[0:1]
	v_mul_f64 v[165:166], v[241:242], s[22:23]
	s_delay_alu instid0(VALU_DEP_4) | instskip(NEXT) | instid1(VALU_DEP_2)
	v_add_f64 v[9:10], v[132:133], v[9:10]
	v_fma_f64 v[235:236], v[213:214], s[16:17], v[165:166]
	v_fma_f64 v[132:133], v[213:214], s[16:17], -v[165:166]
	v_mul_f64 v[165:166], v[233:234], s[40:41]
	s_waitcnt vmcnt(0)
	v_add_f64 v[157:158], v[159:160], v[157:158]
	v_mul_f64 v[159:160], v[191:192], s[24:25]
	v_add_f64 v[235:236], v[235:236], v[2:3]
	v_fma_f64 v[2:3], v[243:244], s[18:19], v[31:32]
	v_fma_f64 v[31:32], v[243:244], s[34:35], v[31:32]
	v_add_f64 v[11:12], v[132:133], v[11:12]
	v_add_f64 v[21:22], v[157:158], v[21:22]
	v_add_f64 v[159:160], v[159:160], -v[247:248]
	scratch_load_b64 v[247:248], off, off offset:192 ; 8-byte Folded Reload
	v_mul_f64 v[157:158], v[213:214], s[14:15]
	v_add_f64 v[2:3], v[2:3], v[0:1]
	v_fma_f64 v[0:1], v[219:220], s[14:15], v[33:34]
	v_fma_f64 v[33:34], v[219:220], s[14:15], -v[33:34]
	v_add_f64 v[134:135], v[31:32], v[9:10]
	v_mul_f64 v[9:10], v[187:188], s[14:15]
	s_delay_alu instid0(VALU_DEP_4) | instskip(NEXT) | instid1(VALU_DEP_4)
	v_add_f64 v[0:1], v[0:1], v[235:236]
	v_add_f64 v[132:133], v[33:34], v[11:12]
	v_mul_f64 v[235:236], v[223:224], s[8:9]
	s_delay_alu instid0(VALU_DEP_4) | instskip(SKIP_1) | instid1(VALU_DEP_2)
	v_fma_f64 v[11:12], v[197:198], s[18:19], v[9:10]
	v_fma_f64 v[9:10], v[197:198], s[34:35], v[9:10]
	v_add_f64 v[11:12], v[11:12], v[15:16]
	v_mul_f64 v[15:16], v[195:196], s[34:35]
	s_delay_alu instid0(VALU_DEP_1) | instskip(SKIP_1) | instid1(VALU_DEP_2)
	v_fma_f64 v[31:32], v[183:184], s[14:15], v[15:16]
	v_fma_f64 v[15:16], v[183:184], s[14:15], -v[15:16]
	v_add_f64 v[23:24], v[31:32], v[23:24]
	v_mul_f64 v[31:32], v[203:204], s[0:1]
	s_delay_alu instid0(VALU_DEP_1) | instskip(NEXT) | instid1(VALU_DEP_1)
	v_fma_f64 v[33:34], v[217:218], s[42:43], v[31:32]
	v_add_f64 v[11:12], v[33:34], v[11:12]
	v_mul_f64 v[33:34], v[207:208], s[10:11]
	s_delay_alu instid0(VALU_DEP_1) | instskip(NEXT) | instid1(VALU_DEP_1)
	v_fma_f64 v[153:154], v[191:192], s[0:1], v[33:34]
	v_add_f64 v[23:24], v[153:154], v[23:24]
	v_fma_f64 v[153:154], v[227:228], s[28:29], v[161:162]
	s_delay_alu instid0(VALU_DEP_1) | instskip(SKIP_1) | instid1(VALU_DEP_1)
	v_add_f64 v[11:12], v[153:154], v[11:12]
	v_fma_f64 v[153:154], v[199:200], s[24:25], v[165:166]
	v_add_f64 v[23:24], v[153:154], v[23:24]
	v_fma_f64 v[153:154], v[237:238], s[12:13], v[235:236]
	s_delay_alu instid0(VALU_DEP_2) | instskip(SKIP_1) | instid1(VALU_DEP_3)
	v_add_f64 v[23:24], v[37:38], v[23:24]
	v_mul_f64 v[37:38], v[229:230], s[16:17]
	v_add_f64 v[11:12], v[153:154], v[11:12]
	s_delay_alu instid0(VALU_DEP_2) | instskip(NEXT) | instid1(VALU_DEP_1)
	v_fma_f64 v[153:154], v[243:244], s[38:39], v[37:38]
	v_add_f64 v[155:156], v[153:154], v[11:12]
	v_mul_f64 v[11:12], v[245:246], s[22:23]
	s_delay_alu instid0(VALU_DEP_1) | instskip(SKIP_1) | instid1(VALU_DEP_2)
	v_fma_f64 v[153:154], v[219:220], s[16:17], v[11:12]
	v_fma_f64 v[11:12], v[219:220], s[16:17], -v[11:12]
	v_add_f64 v[153:154], v[153:154], v[23:24]
	v_mul_f64 v[23:24], v[203:204], s[24:25]
	s_delay_alu instid0(VALU_DEP_1) | instskip(SKIP_1) | instid1(VALU_DEP_2)
	v_add_f64 v[23:24], v[193:194], v[23:24]
	v_mul_f64 v[193:194], v[183:184], s[16:17]
	v_add_f64 v[21:22], v[23:24], v[21:22]
	s_waitcnt vmcnt(0)
	s_delay_alu instid0(VALU_DEP_2) | instskip(SKIP_1) | instid1(VALU_DEP_2)
	v_add_f64 v[193:194], v[193:194], -v[247:248]
	v_mul_f64 v[247:248], v[209:210], s[20:21]
	v_add_f64 v[29:30], v[193:194], v[29:30]
	scratch_load_b64 v[193:194], off, off offset:216 ; 8-byte Folded Reload
	v_add_f64 v[201:202], v[201:202], v[247:248]
	v_mul_f64 v[247:248], v[199:200], s[20:21]
	v_add_f64 v[23:24], v[159:160], v[29:30]
	v_mul_f64 v[29:30], v[229:230], s[8:9]
	s_delay_alu instid0(VALU_DEP_4) | instskip(NEXT) | instid1(VALU_DEP_4)
	v_add_f64 v[21:22], v[201:202], v[21:22]
	v_add_f64 v[247:248], v[247:248], -v[249:250]
	v_mul_f64 v[249:250], v[223:224], s[14:15]
	v_mul_f64 v[159:160], v[219:220], s[8:9]
	;; [unrolled: 1-line block ×3, first 2 shown]
	v_add_f64 v[29:30], v[189:190], v[29:30]
	scratch_load_b64 v[189:190], off, off offset:224 ; 8-byte Folded Reload
	v_add_f64 v[23:24], v[247:248], v[23:24]
	v_add_f64 v[138:139], v[138:139], v[249:250]
	s_delay_alu instid0(VALU_DEP_1) | instskip(SKIP_3) | instid1(VALU_DEP_3)
	v_add_f64 v[21:22], v[138:139], v[21:22]
	v_mul_f64 v[138:139], v[183:184], s[24:25]
	s_waitcnt vmcnt(0)
	v_add_f64 v[189:190], v[159:160], -v[189:190]
	v_add_f64 v[159:160], v[29:30], v[21:22]
	v_mul_f64 v[21:22], v[203:204], s[16:17]
	scratch_load_b64 v[29:30], off, off offset:232 ; 8-byte Folded Reload
	v_add_f64 v[21:22], v[141:142], v[21:22]
	scratch_load_b64 v[141:142], off, off offset:208 ; 8-byte Folded Reload
	v_add_f64 v[157:158], v[157:158], -v[193:194]
	v_mul_f64 v[193:194], v[241:242], s[40:41]
	s_delay_alu instid0(VALU_DEP_2) | instskip(NEXT) | instid1(VALU_DEP_1)
	v_add_f64 v[23:24], v[157:158], v[23:24]
	v_add_f64 v[157:158], v[189:190], v[23:24]
	v_mul_f64 v[23:24], v[187:188], s[24:25]
	v_mul_f64 v[189:190], v[223:224], s[24:25]
	s_waitcnt vmcnt(1)
	s_delay_alu instid0(VALU_DEP_2) | instskip(SKIP_3) | instid1(VALU_DEP_3)
	v_add_f64 v[23:24], v[29:30], v[23:24]
	v_mul_f64 v[29:30], v[191:192], s[16:17]
	s_waitcnt vmcnt(0)
	v_add_f64 v[138:139], v[138:139], -v[141:142]
	v_add_f64 v[13:14], v[23:24], v[13:14]
	s_delay_alu instid0(VALU_DEP_3)
	v_add_f64 v[29:30], v[29:30], -v[143:144]
	v_mul_f64 v[141:142], v[209:210], s[8:9]
	v_mul_f64 v[143:144], v[199:200], s[8:9]
	v_add_f64 v[23:24], v[138:139], v[27:28]
	scratch_load_b64 v[138:139], off, off offset:240 ; 8-byte Folded Reload
	v_add_f64 v[13:14], v[21:22], v[13:14]
	v_add_f64 v[141:142], v[149:150], v[141:142]
	v_add_f64 v[143:144], v[143:144], -v[145:146]
	v_mul_f64 v[145:146], v[223:224], s[0:1]
	v_mul_f64 v[27:28], v[213:214], s[0:1]
	v_add_f64 v[21:22], v[29:30], v[23:24]
	v_mul_f64 v[23:24], v[229:230], s[20:21]
	v_mul_f64 v[29:30], v[219:220], s[20:21]
	v_add_f64 v[13:14], v[141:142], v[13:14]
	v_add_f64 v[145:146], v[151:152], v[145:146]
	v_add_f64 v[27:28], v[27:28], -v[147:148]
	v_add_f64 v[21:22], v[143:144], v[21:22]
	v_add_f64 v[23:24], v[185:186], v[23:24]
	v_mul_f64 v[185:186], v[233:234], s[18:19]
	v_add_f64 v[13:14], v[145:146], v[13:14]
	s_delay_alu instid0(VALU_DEP_4) | instskip(SKIP_1) | instid1(VALU_DEP_3)
	v_add_f64 v[21:22], v[27:28], v[21:22]
	v_mul_f64 v[27:28], v[203:204], s[8:9]
	v_add_f64 v[143:144], v[23:24], v[13:14]
	v_mul_f64 v[13:14], v[187:188], s[20:21]
	s_waitcnt vmcnt(0)
	v_add_f64 v[29:30], v[29:30], -v[138:139]
	s_delay_alu instid0(VALU_DEP_1) | instskip(NEXT) | instid1(VALU_DEP_3)
	v_add_f64 v[141:142], v[29:30], v[21:22]
	v_fma_f64 v[21:22], v[197:198], s[30:31], v[13:14]
	v_fma_f64 v[29:30], v[217:218], s[36:37], v[27:28]
	s_delay_alu instid0(VALU_DEP_2) | instskip(SKIP_2) | instid1(VALU_DEP_3)
	v_add_f64 v[17:18], v[21:22], v[17:18]
	v_mul_f64 v[21:22], v[195:196], s[30:31]
	v_mul_f64 v[195:196], v[245:246], s[42:43]
	v_add_f64 v[17:18], v[29:30], v[17:18]
	s_delay_alu instid0(VALU_DEP_3) | instskip(SKIP_1) | instid1(VALU_DEP_2)
	v_fma_f64 v[23:24], v[183:184], s[20:21], -v[21:22]
	v_mul_f64 v[29:30], v[207:208], s[36:37]
	v_add_f64 v[23:24], v[23:24], v[19:20]
	s_delay_alu instid0(VALU_DEP_2) | instskip(SKIP_3) | instid1(VALU_DEP_1)
	v_fma_f64 v[138:139], v[191:192], s[8:9], -v[29:30]
	scratch_load_b64 v[19:20], off, off offset:360 ; 8-byte Folded Reload
	v_add_f64 v[23:24], v[138:139], v[23:24]
	v_mul_f64 v[138:139], v[209:210], s[14:15]
	v_fma_f64 v[145:146], v[227:228], s[18:19], v[138:139]
	s_delay_alu instid0(VALU_DEP_1) | instskip(SKIP_1) | instid1(VALU_DEP_1)
	v_add_f64 v[17:18], v[145:146], v[17:18]
	v_fma_f64 v[145:146], v[199:200], s[14:15], -v[185:186]
	v_add_f64 v[23:24], v[145:146], v[23:24]
	v_fma_f64 v[145:146], v[237:238], s[40:41], v[189:190]
	s_delay_alu instid0(VALU_DEP_1) | instskip(SKIP_1) | instid1(VALU_DEP_1)
	v_add_f64 v[17:18], v[145:146], v[17:18]
	v_fma_f64 v[145:146], v[213:214], s[24:25], -v[193:194]
	v_add_f64 v[23:24], v[145:146], v[23:24]
	;; [unrolled: 5-line block ×3, first 2 shown]
	scratch_load_b64 v[17:18], off, off offset:376 ; 8-byte Folded Reload
	s_waitcnt vmcnt(0)
	v_add_f64 v[9:10], v[9:10], v[17:18]
	scratch_load_b64 v[17:18], off, off offset:368 ; 8-byte Folded Reload
	s_waitcnt vmcnt(0)
	v_add_f64 v[15:16], v[15:16], v[17:18]
	v_fma_f64 v[17:18], v[217:218], s[10:11], v[31:32]
	s_delay_alu instid0(VALU_DEP_1) | instskip(SKIP_1) | instid1(VALU_DEP_1)
	v_add_f64 v[9:10], v[17:18], v[9:10]
	v_fma_f64 v[17:18], v[191:192], s[0:1], -v[33:34]
	v_add_f64 v[15:16], v[17:18], v[15:16]
	v_fma_f64 v[17:18], v[227:228], s[40:41], v[161:162]
	s_delay_alu instid0(VALU_DEP_1) | instskip(SKIP_1) | instid1(VALU_DEP_1)
	v_add_f64 v[9:10], v[17:18], v[9:10]
	v_fma_f64 v[17:18], v[199:200], s[24:25], -v[165:166]
	;; [unrolled: 5-line block ×3, first 2 shown]
	v_add_f64 v[15:16], v[17:18], v[15:16]
	v_fma_f64 v[17:18], v[243:244], s[22:23], v[37:38]
	s_delay_alu instid0(VALU_DEP_2) | instskip(NEXT) | instid1(VALU_DEP_2)
	v_add_f64 v[149:150], v[11:12], v[15:16]
	v_add_f64 v[151:152], v[17:18], v[9:10]
	v_fma_f64 v[9:10], v[197:198], s[26:27], v[13:14]
	v_fma_f64 v[11:12], v[217:218], s[12:13], v[27:28]
	;; [unrolled: 1-line block ×5, first 2 shown]
	v_add_f64 v[9:10], v[9:10], v[19:20]
	v_fma_f64 v[19:20], v[183:184], s[20:21], v[21:22]
	s_delay_alu instid0(VALU_DEP_2) | instskip(NEXT) | instid1(VALU_DEP_2)
	v_add_f64 v[9:10], v[11:12], v[9:10]
	v_add_f64 v[19:20], v[19:20], v[163:164]
	v_fma_f64 v[11:12], v[191:192], s[8:9], v[29:30]
	s_delay_alu instid0(VALU_DEP_3) | instskip(SKIP_1) | instid1(VALU_DEP_3)
	v_add_f64 v[9:10], v[13:14], v[9:10]
	v_fma_f64 v[13:14], v[199:200], s[14:15], v[185:186]
	v_add_f64 v[11:12], v[11:12], v[19:20]
	v_mul_f64 v[19:20], v[199:200], s[16:17]
	s_delay_alu instid0(VALU_DEP_4) | instskip(SKIP_1) | instid1(VALU_DEP_4)
	v_add_f64 v[9:10], v[15:16], v[9:10]
	v_mul_f64 v[15:16], v[191:192], s[14:15]
	v_add_f64 v[11:12], v[13:14], v[11:12]
	v_fma_f64 v[13:14], v[213:214], s[24:25], v[193:194]
	v_add_f64 v[19:20], v[19:20], -v[221:222]
	v_add_f64 v[163:164], v[17:18], v[9:10]
	scratch_load_b64 v[17:18], off, off offset:344 ; 8-byte Folded Reload
	v_mul_f64 v[9:10], v[187:188], s[0:1]
	v_add_f64 v[11:12], v[13:14], v[11:12]
	v_fma_f64 v[13:14], v[219:220], s[0:1], v[195:196]
	v_add_f64 v[15:16], v[15:16], -v[215:216]
	s_delay_alu instid0(VALU_DEP_4) | instskip(NEXT) | instid1(VALU_DEP_3)
	v_add_f64 v[9:10], v[211:212], v[9:10]
	v_add_f64 v[161:162], v[13:14], v[11:12]
	v_mul_f64 v[11:12], v[183:184], s[0:1]
	v_mul_f64 v[13:14], v[203:204], s[14:15]
	s_delay_alu instid0(VALU_DEP_2) | instskip(NEXT) | instid1(VALU_DEP_2)
	v_add_f64 v[11:12], v[11:12], -v[205:206]
	v_add_f64 v[13:14], v[225:226], v[13:14]
	s_waitcnt vmcnt(0)
	v_add_f64 v[9:10], v[9:10], v[17:18]
	scratch_load_b64 v[17:18], off, off offset:352 ; 8-byte Folded Reload
	v_add_f64 v[9:10], v[13:14], v[9:10]
	v_mul_f64 v[13:14], v[223:224], s[20:21]
	s_waitcnt vmcnt(0)
	v_add_f64 v[11:12], v[11:12], v[17:18]
	v_mul_f64 v[17:18], v[209:210], s[16:17]
	s_delay_alu instid0(VALU_DEP_2)
	v_add_f64 v[11:12], v[15:16], v[11:12]
	scratch_load_b64 v[15:16], off, off offset:176 ; 8-byte Folded Reload
	v_add_f64 v[17:18], v[251:252], v[17:18]
	v_add_f64 v[11:12], v[19:20], v[11:12]
	s_clause 0x1
	scratch_load_b64 v[19:20], off, off offset:184
	scratch_load_b64 v[21:22], off, off offset:168
	v_add_f64 v[9:10], v[17:18], v[9:10]
	v_mul_f64 v[17:18], v[229:230], s[24:25]
	s_waitcnt vmcnt(2)
	v_add_f64 v[13:14], v[15:16], v[13:14]
	v_mul_f64 v[15:16], v[213:214], s[20:21]
	s_waitcnt vmcnt(1)
	s_delay_alu instid0(VALU_DEP_3) | instskip(NEXT) | instid1(VALU_DEP_2)
	v_add_f64 v[17:18], v[19:20], v[17:18]
	v_add_f64 v[15:16], v[15:16], -v[253:254]
	v_mul_f64 v[19:20], v[219:220], s[24:25]
	v_add_f64 v[9:10], v[13:14], v[9:10]
	s_delay_alu instid0(VALU_DEP_3) | instskip(SKIP_1) | instid1(VALU_DEP_3)
	v_add_f64 v[11:12], v[15:16], v[11:12]
	s_waitcnt vmcnt(0)
	v_add_f64 v[19:20], v[19:20], -v[21:22]
	s_delay_alu instid0(VALU_DEP_3) | instskip(NEXT) | instid1(VALU_DEP_2)
	v_add_f64 v[185:186], v[17:18], v[9:10]
	v_add_f64 v[183:184], v[19:20], v[11:12]
	s_clause 0x1
	scratch_load_b64 v[9:10], off, off offset:288
	scratch_load_b64 v[11:12], off, off offset:312
	s_waitcnt vmcnt(0)
	v_add_f64 v[9:10], v[11:12], v[9:10]
	s_clause 0x1
	scratch_load_b64 v[11:12], off, off offset:280
	scratch_load_b64 v[13:14], off, off offset:320
	s_waitcnt vmcnt(0)
	v_add_f64 v[11:12], v[13:14], v[11:12]
	scratch_load_b64 v[13:14], off, off offset:304 ; 8-byte Folded Reload
	s_waitcnt vmcnt(0)
	v_add_f64 v[9:10], v[9:10], v[13:14]
	scratch_load_b64 v[13:14], off, off offset:296 ; 8-byte Folded Reload
	v_add_f64 v[9:10], v[9:10], v[173:174]
	s_delay_alu instid0(VALU_DEP_1) | instskip(NEXT) | instid1(VALU_DEP_1)
	v_add_f64 v[9:10], v[9:10], v[169:170]
	v_add_f64 v[9:10], v[9:10], v[179:180]
	s_delay_alu instid0(VALU_DEP_1) | instskip(NEXT) | instid1(VALU_DEP_1)
	v_add_f64 v[9:10], v[9:10], v[181:182]
	v_add_f64 v[9:10], v[9:10], v[25:26]
	s_delay_alu instid0(VALU_DEP_1) | instskip(SKIP_4) | instid1(VALU_DEP_1)
	v_add_f64 v[9:10], v[9:10], v[231:232]
	s_waitcnt vmcnt(0)
	v_add_f64 v[11:12], v[11:12], v[13:14]
	scratch_load_b64 v[13:14], off, off offset:384 ; 8-byte Folded Reload
	v_add_f64 v[11:12], v[11:12], v[171:172]
	v_add_f64 v[11:12], v[11:12], v[167:168]
	s_delay_alu instid0(VALU_DEP_1) | instskip(NEXT) | instid1(VALU_DEP_1)
	v_add_f64 v[11:12], v[11:12], v[175:176]
	v_add_f64 v[11:12], v[11:12], v[177:178]
	s_delay_alu instid0(VALU_DEP_1) | instskip(SKIP_1) | instid1(VALU_DEP_1)
	v_add_f64 v[11:12], v[11:12], v[136:137]
	s_waitcnt vmcnt(0)
	v_add_f64 v[11:12], v[11:12], v[13:14]
	scratch_load_b64 v[13:14], off, off offset:336 ; 8-byte Folded Reload
	s_waitcnt vmcnt(0)
	v_add_f64 v[9:10], v[9:10], v[13:14]
	scratch_load_b64 v[13:14], off, off offset:328 ; 8-byte Folded Reload
	;; [unrolled: 3-line block ×6, first 2 shown]
	s_waitcnt vmcnt(0)
	v_add_f64 v[165:166], v[11:12], v[9:10]
	s_clause 0x1
	scratch_load_b32 v9, off, off offset:164
	scratch_load_b32 v4, off, off
	s_waitcnt vmcnt(0)
	v_lshl_add_u32 v9, v4, 4, v9
	ds_store_b128 v9, v[157:160] offset:1600
	ds_store_b128 v9, v[141:144] offset:2400
	;; [unrolled: 1-line block ×11, first 2 shown]
	ds_store_b128 v255, v[165:168]
	ds_store_b128 v9, v[104:107] offset:9600
.LBB0_5:
	s_or_b32 exec_lo, exec_lo, s33
	v_add_co_u32 v9, s0, 0x28a0, v39
	s_delay_alu instid0(VALU_DEP_1)
	v_add_co_ci_u32_e64 v10, s0, 0, v5, s0
	s_waitcnt lgkmcnt(0)
	s_waitcnt_vscnt null, 0x0
	s_barrier
	buffer_gl0_inv
	s_clause 0x3
	global_load_b128 v[0:3], v[239:240], off offset:2208
	global_load_b128 v[132:135], v[9:10], off offset:1040
	global_load_b128 v[136:139], v[9:10], off offset:2080
	global_load_b128 v[141:144], v[9:10], off offset:3120
	v_add_co_u32 v9, s0, 0x3000, v39
	s_delay_alu instid0(VALU_DEP_1) | instskip(SKIP_1) | instid1(VALU_DEP_1)
	v_add_co_ci_u32_e64 v10, s0, 0, v5, s0
	v_add_co_u32 v4, s0, 0x4000, v39
	v_add_co_ci_u32_e64 v5, s0, 0, v5, s0
	s_clause 0x5
	global_load_b128 v[145:148], v[9:10], off offset:2272
	global_load_b128 v[149:152], v[9:10], off offset:3312
	;; [unrolled: 1-line block ×6, first 2 shown]
	ds_load_b128 v[169:172], v255
	ds_load_b128 v[173:176], v255 offset:1040
	ds_load_b128 v[177:180], v255 offset:2080
	;; [unrolled: 1-line block ×9, first 2 shown]
	s_mov_b32 s10, 0x134454ff
	s_mov_b32 s11, 0xbfee6f0e
	;; [unrolled: 1-line block ×16, first 2 shown]
	s_waitcnt vmcnt(9) lgkmcnt(9)
	v_mul_f64 v[4:5], v[171:172], v[2:3]
	v_mul_f64 v[9:10], v[169:170], v[2:3]
	s_waitcnt vmcnt(8) lgkmcnt(8)
	v_mul_f64 v[11:12], v[175:176], v[134:135]
	v_mul_f64 v[13:14], v[173:174], v[134:135]
	;; [unrolled: 3-line block ×10, first 2 shown]
	v_fma_f64 v[2:3], v[169:170], v[0:1], -v[4:5]
	v_fma_f64 v[4:5], v[171:172], v[0:1], v[9:10]
	v_fma_f64 v[167:168], v[173:174], v[132:133], -v[11:12]
	v_fma_f64 v[169:170], v[175:176], v[132:133], v[13:14]
	;; [unrolled: 2-line block ×10, first 2 shown]
	ds_store_b128 v255, v[2:5]
	ds_store_b128 v255, v[167:170] offset:1040
	ds_store_b128 v255, v[132:135] offset:2080
	;; [unrolled: 1-line block ×9, first 2 shown]
	s_waitcnt lgkmcnt(0)
	s_barrier
	buffer_gl0_inv
	ds_load_b128 v[0:3], v255 offset:3120
	ds_load_b128 v[132:135], v255 offset:5200
	;; [unrolled: 1-line block ×9, first 2 shown]
	ds_load_b128 v[165:168], v255
	s_waitcnt lgkmcnt(0)
	s_barrier
	buffer_gl0_inv
	v_add_f64 v[29:30], v[0:1], -v[132:133]
	v_add_f64 v[4:5], v[134:135], v[138:139]
	v_add_f64 v[9:10], v[2:3], v[143:144]
	;; [unrolled: 1-line block ×4, first 2 shown]
	v_add_f64 v[15:16], v[0:1], -v[141:142]
	v_add_f64 v[17:18], v[132:133], -v[136:137]
	;; [unrolled: 1-line block ×3, first 2 shown]
	v_add_f64 v[21:22], v[153:154], v[157:158]
	v_add_f64 v[23:24], v[149:150], v[161:162]
	;; [unrolled: 1-line block ×3, first 2 shown]
	v_add_f64 v[31:32], v[141:142], -v[136:137]
	v_add_f64 v[33:34], v[2:3], -v[134:135]
	;; [unrolled: 1-line block ×6, first 2 shown]
	v_add_f64 v[27:28], v[151:152], v[163:164]
	v_add_f64 v[179:180], v[165:166], v[149:150]
	;; [unrolled: 1-line block ×4, first 2 shown]
	v_add_f64 v[181:182], v[151:152], -v[163:164]
	v_add_f64 v[183:184], v[155:156], -v[159:160]
	;; [unrolled: 1-line block ×4, first 2 shown]
	v_fma_f64 v[4:5], v[4:5], -0.5, v[147:148]
	v_fma_f64 v[9:10], v[9:10], -0.5, v[147:148]
	;; [unrolled: 1-line block ×4, first 2 shown]
	v_add_f64 v[145:146], v[145:146], v[0:1]
	v_add_f64 v[0:1], v[132:133], -v[0:1]
	v_add_f64 v[147:148], v[153:154], -v[157:158]
	v_fma_f64 v[21:22], v[21:22], -0.5, v[165:166]
	v_fma_f64 v[23:24], v[23:24], -0.5, v[165:166]
	;; [unrolled: 1-line block ×3, first 2 shown]
	v_add_f64 v[29:30], v[29:30], v[31:32]
	v_add_f64 v[31:32], v[33:34], v[35:36]
	;; [unrolled: 1-line block ×3, first 2 shown]
	v_add_f64 v[169:170], v[157:158], -v[161:162]
	v_fma_f64 v[27:28], v[27:28], -0.5, v[167:168]
	v_add_f64 v[167:168], v[161:162], -v[157:158]
	v_add_f64 v[2:3], v[2:3], v[134:135]
	v_fma_f64 v[173:174], v[15:16], s[12:13], v[4:5]
	v_fma_f64 v[175:176], v[17:18], s[10:11], v[9:10]
	;; [unrolled: 1-line block ×8, first 2 shown]
	v_add_f64 v[132:133], v[145:146], v[132:133]
	v_add_f64 v[0:1], v[0:1], v[189:190]
	v_fma_f64 v[134:135], v[181:182], s[10:11], v[21:22]
	v_fma_f64 v[21:22], v[181:182], s[12:13], v[21:22]
	;; [unrolled: 1-line block ×4, first 2 shown]
	v_add_f64 v[2:3], v[2:3], v[138:139]
	v_fma_f64 v[37:38], v[17:18], s[8:9], v[173:174]
	v_fma_f64 v[165:166], v[15:16], s[8:9], v[175:176]
	;; [unrolled: 1-line block ×5, first 2 shown]
	v_add_f64 v[17:18], v[149:150], -v[153:154]
	v_add_f64 v[149:150], v[153:154], -v[149:150]
	;; [unrolled: 1-line block ×5, first 2 shown]
	v_add_f64 v[153:154], v[179:180], v[153:154]
	v_add_f64 v[155:156], v[185:186], v[155:156]
	v_add_f64 v[175:176], v[163:164], -v[159:160]
	v_fma_f64 v[179:180], v[187:188], s[12:13], v[25:26]
	v_fma_f64 v[11:12], v[171:172], s[8:9], v[11:12]
	;; [unrolled: 1-line block ×7, first 2 shown]
	v_add_f64 v[132:133], v[132:133], v[136:137]
	v_fma_f64 v[134:135], v[183:184], s[0:1], v[134:135]
	v_fma_f64 v[21:22], v[183:184], s[8:9], v[21:22]
	;; [unrolled: 1-line block ×9, first 2 shown]
	v_add_f64 v[17:18], v[17:18], v[167:168]
	v_add_f64 v[31:32], v[149:150], v[169:170]
	;; [unrolled: 1-line block ×6, first 2 shown]
	v_fma_f64 v[138:139], v[147:148], s[8:9], v[179:180]
	v_fma_f64 v[11:12], v[29:30], s[14:15], v[11:12]
	;; [unrolled: 1-line block ×7, first 2 shown]
	v_add_f64 v[132:133], v[132:133], v[141:142]
	v_add_f64 v[141:142], v[2:3], v[143:144]
	v_mul_f64 v[13:14], v[19:20], s[0:1]
	v_mul_f64 v[35:36], v[37:38], s[10:11]
	v_mul_f64 v[37:38], v[37:38], s[14:15]
	v_mul_f64 v[157:158], v[15:16], s[8:9]
	v_mul_f64 v[147:148], v[9:10], s[10:11]
	v_mul_f64 v[9:10], v[9:10], s[18:19]
	v_mul_f64 v[155:156], v[4:5], s[0:1]
	v_mul_f64 v[4:5], v[4:5], s[20:21]
	v_fma_f64 v[159:160], v[17:18], s[14:15], v[134:135]
	v_fma_f64 v[17:18], v[17:18], s[14:15], v[21:22]
	v_add_f64 v[151:152], v[151:152], v[161:162]
	v_add_f64 v[153:154], v[153:154], v[163:164]
	v_fma_f64 v[21:22], v[31:32], s[14:15], v[136:137]
	v_fma_f64 v[23:24], v[31:32], s[14:15], v[23:24]
	;; [unrolled: 1-line block ×14, first 2 shown]
	v_add_f64 v[0:1], v[151:152], v[132:133]
	v_add_f64 v[2:3], v[153:154], v[141:142]
	v_add_f64 v[134:135], v[153:154], -v[141:142]
	v_add_f64 v[132:133], v[151:152], -v[132:133]
	v_add_f64 v[136:137], v[159:160], v[13:14]
	v_add_f64 v[141:142], v[21:22], v[15:16]
	;; [unrolled: 1-line block ×8, first 2 shown]
	v_add_f64 v[153:154], v[159:160], -v[13:14]
	v_add_f64 v[165:166], v[17:18], -v[155:156]
	;; [unrolled: 1-line block ×8, first 2 shown]
	ds_store_b128 v7, v[0:3]
	ds_store_b128 v7, v[136:139] offset:16
	ds_store_b128 v7, v[141:144] offset:32
	;; [unrolled: 1-line block ×9, first 2 shown]
	s_waitcnt lgkmcnt(0)
	s_barrier
	buffer_gl0_inv
	ds_load_b128 v[0:3], v255 offset:2080
	ds_load_b128 v[132:135], v255 offset:4160
	;; [unrolled: 1-line block ×8, first 2 shown]
	s_waitcnt lgkmcnt(7)
	v_mul_f64 v[4:5], v[62:63], v[2:3]
	s_waitcnt lgkmcnt(6)
	v_mul_f64 v[9:10], v[54:55], v[134:135]
	;; [unrolled: 2-line block ×3, first 2 shown]
	v_mul_f64 v[13:14], v[62:63], v[0:1]
	s_waitcnt lgkmcnt(4)
	v_mul_f64 v[15:16], v[58:59], v[143:144]
	v_mul_f64 v[17:18], v[54:55], v[132:133]
	;; [unrolled: 1-line block ×4, first 2 shown]
	s_waitcnt lgkmcnt(3)
	v_mul_f64 v[23:24], v[66:67], v[147:148]
	s_waitcnt lgkmcnt(2)
	v_mul_f64 v[25:26], v[78:79], v[151:152]
	;; [unrolled: 2-line block ×3, first 2 shown]
	v_mul_f64 v[29:30], v[78:79], v[149:150]
	s_waitcnt lgkmcnt(0)
	v_mul_f64 v[31:32], v[70:71], v[159:160]
	v_mul_f64 v[33:34], v[74:75], v[153:154]
	;; [unrolled: 1-line block ×4, first 2 shown]
	v_fma_f64 v[4:5], v[60:61], v[0:1], v[4:5]
	v_fma_f64 v[9:10], v[52:53], v[132:133], v[9:10]
	v_fma_f64 v[11:12], v[48:49], v[136:137], v[11:12]
	v_fma_f64 v[13:14], v[60:61], v[2:3], -v[13:14]
	v_fma_f64 v[15:16], v[56:57], v[141:142], v[15:16]
	v_fma_f64 v[17:18], v[52:53], v[134:135], -v[17:18]
	v_fma_f64 v[19:20], v[48:49], v[138:139], -v[19:20]
	v_fma_f64 v[21:22], v[56:57], v[143:144], -v[21:22]
	v_fma_f64 v[23:24], v[64:65], v[145:146], v[23:24]
	v_fma_f64 v[25:26], v[76:77], v[149:150], v[25:26]
	;; [unrolled: 1-line block ×3, first 2 shown]
	v_fma_f64 v[29:30], v[76:77], v[151:152], -v[29:30]
	v_fma_f64 v[31:32], v[68:69], v[157:158], v[31:32]
	v_fma_f64 v[33:34], v[72:73], v[155:156], -v[33:34]
	v_fma_f64 v[35:36], v[64:65], v[147:148], -v[35:36]
	v_fma_f64 v[37:38], v[68:69], v[159:160], -v[37:38]
	ds_load_b128 v[0:3], v255
	ds_load_b128 v[48:51], v255 offset:1040
	s_waitcnt lgkmcnt(0)
	s_barrier
	buffer_gl0_inv
	v_add_f64 v[68:69], v[0:1], v[4:5]
	v_add_f64 v[52:53], v[9:10], v[11:12]
	;; [unrolled: 1-line block ×4, first 2 shown]
	v_add_f64 v[132:133], v[4:5], -v[15:16]
	v_add_f64 v[56:57], v[17:18], v[19:20]
	v_add_f64 v[58:59], v[13:14], v[21:22]
	v_add_f64 v[70:71], v[13:14], -v[21:22]
	v_add_f64 v[72:73], v[17:18], -v[19:20]
	v_add_f64 v[60:61], v[25:26], v[27:28]
	v_add_f64 v[76:77], v[48:49], v[23:24]
	;; [unrolled: 1-line block ×6, first 2 shown]
	v_add_f64 v[134:135], v[35:36], -v[37:38]
	v_add_f64 v[136:137], v[23:24], -v[31:32]
	;; [unrolled: 1-line block ×16, first 2 shown]
	v_fma_f64 v[52:53], v[52:53], -0.5, v[0:1]
	v_add_f64 v[17:18], v[74:75], v[17:18]
	v_fma_f64 v[0:1], v[54:55], -0.5, v[0:1]
	v_add_f64 v[54:55], v[9:10], -v[11:12]
	v_fma_f64 v[56:57], v[56:57], -0.5, v[2:3]
	v_fma_f64 v[2:3], v[58:59], -0.5, v[2:3]
	v_add_f64 v[58:59], v[29:30], -v[33:34]
	v_fma_f64 v[60:61], v[60:61], -0.5, v[48:49]
	;; [unrolled: 3-line block ×3, first 2 shown]
	v_fma_f64 v[50:51], v[66:67], -0.5, v[50:51]
	v_add_f64 v[66:67], v[4:5], -v[9:10]
	v_add_f64 v[4:5], v[9:10], -v[4:5]
	v_add_f64 v[9:10], v[68:69], v[9:10]
	v_add_f64 v[25:26], v[76:77], v[25:26]
	;; [unrolled: 1-line block ×6, first 2 shown]
	v_fma_f64 v[68:69], v[70:71], s[10:11], v[52:53]
	v_fma_f64 v[52:53], v[70:71], s[12:13], v[52:53]
	;; [unrolled: 1-line block ×16, first 2 shown]
	v_add_f64 v[66:67], v[66:67], v[138:139]
	v_add_f64 v[4:5], v[4:5], v[141:142]
	;; [unrolled: 1-line block ×9, first 2 shown]
	v_fma_f64 v[25:26], v[72:73], s[0:1], v[68:69]
	v_fma_f64 v[27:28], v[72:73], s[8:9], v[52:53]
	;; [unrolled: 1-line block ×16, first 2 shown]
	v_add_f64 v[48:49], v[9:10], v[15:16]
	v_add_f64 v[50:51], v[11:12], v[21:22]
	;; [unrolled: 1-line block ×4, first 2 shown]
	v_fma_f64 v[60:61], v[66:67], s[14:15], v[25:26]
	v_fma_f64 v[64:65], v[66:67], s[14:15], v[27:28]
	;; [unrolled: 1-line block ×16, first 2 shown]
	ds_store_b128 v8, v[48:51]
	ds_store_b128 v8, v[60:63] offset:160
	ds_store_b128 v8, v[52:55] offset:320
	;; [unrolled: 1-line block ×4, first 2 shown]
	ds_store_b128 v6, v[68:71]
	ds_store_b128 v6, v[72:75] offset:160
	ds_store_b128 v6, v[132:135] offset:320
	;; [unrolled: 1-line block ×4, first 2 shown]
	s_waitcnt lgkmcnt(0)
	s_barrier
	buffer_gl0_inv
	s_and_saveexec_b32 s0, vcc_lo
	s_cbranch_execz .LBB0_7
; %bb.6:
	ds_load_b128 v[48:51], v255
	ds_load_b128 v[60:63], v255 offset:800
	ds_load_b128 v[52:55], v255 offset:1600
	;; [unrolled: 1-line block ×12, first 2 shown]
.LBB0_7:
	s_or_b32 exec_lo, exec_lo, s0
	s_and_saveexec_b32 s33, vcc_lo
	s_cbranch_execz .LBB0_9
; %bb.8:
	s_waitcnt lgkmcnt(11)
	v_mul_f64 v[0:1], v[46:47], v[60:61]
	s_mov_b32 s35, 0x3fddbe06
	s_mov_b32 s34, 0x4267c47c
	;; [unrolled: 1-line block ×30, first 2 shown]
	scratch_load_b32 v199, off, off         ; 4-byte Folded Reload
	v_fma_f64 v[141:142], v[44:45], v[62:63], -v[0:1]
	v_mul_f64 v[0:1], v[46:47], v[62:63]
	s_delay_alu instid0(VALU_DEP_1) | instskip(SKIP_2) | instid1(VALU_DEP_1)
	v_fma_f64 v[143:144], v[44:45], v[60:61], v[0:1]
	s_waitcnt lgkmcnt(6)
	v_mul_f64 v[0:1], v[118:119], v[74:75]
	v_fma_f64 v[44:45], v[116:117], v[72:73], v[0:1]
	v_mul_f64 v[0:1], v[118:119], v[72:73]
	s_delay_alu instid0(VALU_DEP_1) | instskip(SKIP_2) | instid1(VALU_DEP_1)
	v_fma_f64 v[60:61], v[116:117], v[74:75], -v[0:1]
	s_waitcnt lgkmcnt(5)
	v_mul_f64 v[0:1], v[122:123], v[134:135]
	v_fma_f64 v[46:47], v[120:121], v[132:133], v[0:1]
	v_mul_f64 v[0:1], v[122:123], v[132:133]
	s_delay_alu instid0(VALU_DEP_2) | instskip(NEXT) | instid1(VALU_DEP_2)
	v_add_f64 v[171:172], v[44:45], v[46:47]
	v_fma_f64 v[62:63], v[120:121], v[134:135], -v[0:1]
	v_mul_f64 v[0:1], v[110:111], v[70:71]
	s_delay_alu instid0(VALU_DEP_2) | instskip(NEXT) | instid1(VALU_DEP_2)
	v_add_f64 v[167:168], v[60:61], v[62:63]
	v_fma_f64 v[72:73], v[108:109], v[68:69], v[0:1]
	v_mul_f64 v[0:1], v[110:111], v[68:69]
	s_delay_alu instid0(VALU_DEP_1) | instskip(SKIP_2) | instid1(VALU_DEP_1)
	v_fma_f64 v[74:75], v[108:109], v[70:71], -v[0:1]
	s_waitcnt lgkmcnt(4)
	v_mul_f64 v[0:1], v[114:115], v[138:139]
	v_fma_f64 v[68:69], v[112:113], v[136:137], v[0:1]
	v_mul_f64 v[0:1], v[114:115], v[136:137]
	s_delay_alu instid0(VALU_DEP_1) | instskip(SKIP_1) | instid1(VALU_DEP_2)
	v_fma_f64 v[70:71], v[112:113], v[138:139], -v[0:1]
	v_mul_f64 v[0:1], v[98:99], v[66:67]
	v_add_f64 v[159:160], v[74:75], v[70:71]
	s_delay_alu instid0(VALU_DEP_2) | instskip(SKIP_1) | instid1(VALU_DEP_1)
	v_fma_f64 v[108:109], v[96:97], v[64:65], v[0:1]
	v_mul_f64 v[0:1], v[98:99], v[64:65]
	v_fma_f64 v[96:97], v[96:97], v[66:67], -v[0:1]
	s_waitcnt lgkmcnt(3)
	v_mul_f64 v[0:1], v[102:103], v[78:79]
	s_delay_alu instid0(VALU_DEP_1) | instskip(SKIP_1) | instid1(VALU_DEP_2)
	v_fma_f64 v[64:65], v[100:101], v[76:77], v[0:1]
	v_mul_f64 v[0:1], v[102:103], v[76:77]
	v_add_f64 v[157:158], v[108:109], v[64:65]
	s_delay_alu instid0(VALU_DEP_2) | instskip(SKIP_2) | instid1(VALU_DEP_3)
	v_fma_f64 v[66:67], v[100:101], v[78:79], -v[0:1]
	v_mul_f64 v[0:1], v[90:91], v[58:59]
	v_add_f64 v[100:101], v[108:109], -v[64:65]
	v_add_f64 v[155:156], v[96:97], v[66:67]
	s_delay_alu instid0(VALU_DEP_3) | instskip(SKIP_1) | instid1(VALU_DEP_4)
	v_fma_f64 v[78:79], v[88:89], v[56:57], v[0:1]
	v_mul_f64 v[0:1], v[90:91], v[56:57]
	v_mul_f64 v[189:190], v[100:101], s[26:27]
	s_delay_alu instid0(VALU_DEP_2) | instskip(SKIP_2) | instid1(VALU_DEP_1)
	v_fma_f64 v[88:89], v[88:89], v[58:59], -v[0:1]
	s_waitcnt lgkmcnt(2)
	v_mul_f64 v[0:1], v[94:95], v[130:131]
	v_fma_f64 v[56:57], v[92:93], v[128:129], v[0:1]
	v_mul_f64 v[0:1], v[94:95], v[128:129]
	v_add_f64 v[94:95], v[96:97], -v[66:67]
	s_delay_alu instid0(VALU_DEP_3) | instskip(NEXT) | instid1(VALU_DEP_3)
	v_add_f64 v[118:119], v[78:79], -v[56:57]
	v_fma_f64 v[58:59], v[92:93], v[130:131], -v[0:1]
	v_mul_f64 v[0:1], v[82:83], v[54:55]
	s_delay_alu instid0(VALU_DEP_4)
	v_mul_f64 v[110:111], v[94:95], s[34:35]
	v_mul_f64 v[191:192], v[94:95], s[26:27]
	;; [unrolled: 1-line block ×3, first 2 shown]
	v_add_f64 v[116:117], v[88:89], -v[58:59]
	v_fma_f64 v[90:91], v[80:81], v[52:53], v[0:1]
	v_mul_f64 v[0:1], v[82:83], v[52:53]
	v_add_f64 v[82:83], v[44:45], -v[46:47]
	s_delay_alu instid0(VALU_DEP_4) | instskip(SKIP_1) | instid1(VALU_DEP_4)
	v_mul_f64 v[114:115], v[116:117], s[34:35]
	v_mul_f64 v[187:188], v[116:117], s[24:25]
	v_fma_f64 v[80:81], v[80:81], v[54:55], -v[0:1]
	s_waitcnt lgkmcnt(1)
	v_mul_f64 v[0:1], v[86:87], v[126:127]
	v_mul_f64 v[92:93], v[82:83], s[34:35]
	;; [unrolled: 1-line block ×5, first 2 shown]
	v_fma_f64 v[52:53], v[84:85], v[124:125], v[0:1]
	v_mul_f64 v[0:1], v[86:87], v[124:125]
	v_add_f64 v[86:87], v[60:61], -v[62:63]
	s_delay_alu instid0(VALU_DEP_2) | instskip(SKIP_3) | instid1(VALU_DEP_4)
	v_fma_f64 v[76:77], v[84:85], v[126:127], -v[0:1]
	s_waitcnt lgkmcnt(0)
	v_mul_f64 v[0:1], v[42:43], v[106:107]
	v_add_f64 v[84:85], v[72:73], -v[68:69]
	v_mul_f64 v[98:99], v[86:87], s[34:35]
	v_mul_f64 v[173:174], v[86:87], s[30:31]
	v_add_f64 v[102:103], v[80:81], -v[76:77]
	v_fma_f64 v[54:55], v[40:41], v[104:105], v[0:1]
	v_mul_f64 v[0:1], v[42:43], v[104:105]
	v_add_f64 v[104:105], v[90:91], -v[52:53]
	v_add_f64 v[42:43], v[74:75], -v[70:71]
	v_mul_f64 v[12:13], v[84:85], s[34:35]
	v_mul_f64 v[175:176], v[84:85], s[28:29]
	;; [unrolled: 1-line block ×4, first 2 shown]
	v_add_f64 v[124:125], v[143:144], v[54:55]
	v_fma_f64 v[40:41], v[40:41], v[106:107], -v[0:1]
	v_add_f64 v[0:1], v[143:144], -v[54:55]
	v_mul_f64 v[4:5], v[104:105], s[34:35]
	v_mul_f64 v[14:15], v[42:43], s[34:35]
	;; [unrolled: 1-line block ×3, first 2 shown]
	s_mov_b32 s35, 0xbfddbe06
	v_mul_f64 v[163:164], v[42:43], s[26:27]
	v_mul_f64 v[177:178], v[42:43], s[28:29]
	;; [unrolled: 1-line block ×3, first 2 shown]
	v_add_f64 v[20:21], v[141:142], v[40:41]
	v_mul_f64 v[2:3], v[0:1], s[20:21]
	v_mul_f64 v[8:9], v[0:1], s[22:23]
	;; [unrolled: 1-line block ×6, first 2 shown]
	v_fma_f64 v[22:23], v[20:21], s[14:15], v[2:3]
	v_fma_f64 v[2:3], v[20:21], s[14:15], -v[2:3]
	v_fma_f64 v[24:25], v[20:21], s[8:9], v[8:9]
	v_fma_f64 v[8:9], v[20:21], s[8:9], -v[8:9]
	;; [unrolled: 2-line block ×6, first 2 shown]
	v_add_f64 v[20:21], v[141:142], -v[40:41]
	v_add_f64 v[22:23], v[50:51], v[22:23]
	v_add_f64 v[24:25], v[50:51], v[24:25]
	;; [unrolled: 1-line block ×3, first 2 shown]
	v_mul_f64 v[8:9], v[118:119], s[22:23]
	v_add_f64 v[151:152], v[50:51], v[10:11]
	v_add_f64 v[26:27], v[50:51], v[26:27]
	;; [unrolled: 1-line block ×6, first 2 shown]
	v_mul_f64 v[38:39], v[20:21], s[26:27]
	v_mul_f64 v[122:123], v[20:21], s[28:29]
	;; [unrolled: 1-line block ×6, first 2 shown]
	s_mov_b32 s35, 0x3fcea1e5
	s_mov_b32 s34, s20
	v_fma_f64 v[130:131], v[124:125], s[0:1], -v[38:39]
	v_fma_f64 v[138:139], v[124:125], s[12:13], v[122:123]
	v_fma_f64 v[126:127], v[124:125], s[14:15], -v[34:35]
	v_fma_f64 v[34:35], v[124:125], s[14:15], v[34:35]
	;; [unrolled: 2-line block ×3, first 2 shown]
	v_fma_f64 v[38:39], v[124:125], s[0:1], v[38:39]
	v_fma_f64 v[132:133], v[124:125], s[10:11], -v[120:121]
	v_fma_f64 v[134:135], v[124:125], s[10:11], v[120:121]
	v_fma_f64 v[136:137], v[124:125], s[12:13], -v[122:123]
	v_fma_f64 v[145:146], v[124:125], s[16:17], -v[20:21]
	v_fma_f64 v[20:21], v[124:125], s[16:17], v[20:21]
	v_add_f64 v[124:125], v[50:51], v[32:33]
	v_add_f64 v[32:33], v[50:51], v[0:1]
	;; [unrolled: 1-line block ×19, first 2 shown]
	v_fma_f64 v[0:1], v[138:139], s[16:17], v[4:5]
	v_fma_f64 v[4:5], v[138:139], s[16:17], -v[4:5]
	s_delay_alu instid0(VALU_DEP_2) | instskip(SKIP_1) | instid1(VALU_DEP_3)
	v_add_f64 v[0:1], v[0:1], v[22:23]
	v_add_f64 v[22:23], v[90:91], v[52:53]
	;; [unrolled: 1-line block ×3, first 2 shown]
	s_delay_alu instid0(VALU_DEP_2) | instskip(SKIP_1) | instid1(VALU_DEP_2)
	v_fma_f64 v[2:3], v[22:23], s[16:17], -v[6:7]
	v_fma_f64 v[6:7], v[22:23], s[16:17], v[6:7]
	v_add_f64 v[2:3], v[2:3], v[141:142]
	v_add_f64 v[141:142], v[88:89], v[58:59]
	s_delay_alu instid0(VALU_DEP_3) | instskip(SKIP_1) | instid1(VALU_DEP_3)
	v_add_f64 v[6:7], v[6:7], v[34:35]
	v_mul_f64 v[34:35], v[104:105], s[30:31]
	v_fma_f64 v[10:11], v[141:142], s[8:9], v[8:9]
	v_fma_f64 v[8:9], v[141:142], s[8:9], -v[8:9]
	s_delay_alu instid0(VALU_DEP_2) | instskip(SKIP_1) | instid1(VALU_DEP_3)
	v_add_f64 v[0:1], v[10:11], v[0:1]
	v_mul_f64 v[10:11], v[116:117], s[22:23]
	v_add_f64 v[4:5], v[8:9], v[4:5]
	s_delay_alu instid0(VALU_DEP_2) | instskip(SKIP_2) | instid1(VALU_DEP_3)
	v_fma_f64 v[48:49], v[145:146], s[8:9], -v[10:11]
	v_fma_f64 v[8:9], v[145:146], s[8:9], v[10:11]
	v_fma_f64 v[10:11], v[171:172], s[10:11], v[173:174]
	v_add_f64 v[2:3], v[48:49], v[2:3]
	v_mul_f64 v[48:49], v[100:101], s[18:19]
	s_delay_alu instid0(VALU_DEP_4) | instskip(NEXT) | instid1(VALU_DEP_2)
	v_add_f64 v[6:7], v[8:9], v[6:7]
	v_fma_f64 v[50:51], v[155:156], s[12:13], v[48:49]
	v_fma_f64 v[8:9], v[155:156], s[12:13], -v[48:49]
	v_mul_f64 v[48:49], v[118:119], s[28:29]
	s_delay_alu instid0(VALU_DEP_3) | instskip(SKIP_1) | instid1(VALU_DEP_4)
	v_add_f64 v[0:1], v[50:51], v[0:1]
	v_mul_f64 v[50:51], v[94:95], s[18:19]
	v_add_f64 v[4:5], v[8:9], v[4:5]
	s_delay_alu instid0(VALU_DEP_2) | instskip(SKIP_2) | instid1(VALU_DEP_3)
	v_fma_f64 v[134:135], v[157:158], s[12:13], -v[50:51]
	v_fma_f64 v[8:9], v[157:158], s[12:13], v[50:51]
	v_fma_f64 v[50:51], v[141:142], s[12:13], v[48:49]
	v_add_f64 v[2:3], v[134:135], v[2:3]
	v_mul_f64 v[134:135], v[84:85], s[26:27]
	s_delay_alu instid0(VALU_DEP_4) | instskip(NEXT) | instid1(VALU_DEP_2)
	v_add_f64 v[6:7], v[8:9], v[6:7]
	v_fma_f64 v[161:162], v[159:160], s[0:1], v[134:135]
	v_fma_f64 v[8:9], v[159:160], s[0:1], -v[134:135]
	s_delay_alu instid0(VALU_DEP_2) | instskip(SKIP_1) | instid1(VALU_DEP_3)
	v_add_f64 v[0:1], v[161:162], v[0:1]
	v_add_f64 v[161:162], v[72:73], v[68:69]
	;; [unrolled: 1-line block ×3, first 2 shown]
	s_delay_alu instid0(VALU_DEP_2) | instskip(SKIP_2) | instid1(VALU_DEP_3)
	v_fma_f64 v[8:9], v[161:162], s[0:1], v[163:164]
	v_fma_f64 v[165:166], v[161:162], s[0:1], -v[163:164]
	v_mul_f64 v[163:164], v[82:83], s[26:27]
	v_add_f64 v[8:9], v[8:9], v[6:7]
	v_fma_f64 v[6:7], v[167:168], s[10:11], -v[169:170]
	s_delay_alu instid0(VALU_DEP_4) | instskip(SKIP_1) | instid1(VALU_DEP_3)
	v_add_f64 v[165:166], v[165:166], v[2:3]
	v_fma_f64 v[2:3], v[167:168], s[10:11], v[169:170]
	v_add_f64 v[6:7], v[6:7], v[4:5]
	v_add_f64 v[4:5], v[10:11], v[8:9]
	v_fma_f64 v[8:9], v[138:139], s[10:11], v[34:35]
	v_fma_f64 v[34:35], v[138:139], s[10:11], -v[34:35]
	v_add_f64 v[2:3], v[2:3], v[0:1]
	v_fma_f64 v[0:1], v[171:172], s[10:11], -v[173:174]
	s_delay_alu instid0(VALU_DEP_4) | instskip(SKIP_2) | instid1(VALU_DEP_4)
	v_add_f64 v[8:9], v[8:9], v[24:25]
	v_mul_f64 v[24:25], v[102:103], s[30:31]
	v_add_f64 v[34:35], v[34:35], v[147:148]
	v_add_f64 v[0:1], v[0:1], v[165:166]
	v_mul_f64 v[165:166], v[86:87], s[26:27]
	v_mul_f64 v[147:148], v[94:95], s[36:37]
	v_add_f64 v[8:9], v[50:51], v[8:9]
	v_fma_f64 v[10:11], v[22:23], s[10:11], -v[24:25]
	v_mul_f64 v[50:51], v[116:117], s[28:29]
	v_fma_f64 v[24:25], v[22:23], s[10:11], v[24:25]
	s_delay_alu instid0(VALU_DEP_3) | instskip(NEXT) | instid1(VALU_DEP_3)
	v_add_f64 v[10:11], v[10:11], v[128:129]
	v_fma_f64 v[128:129], v[145:146], s[12:13], -v[50:51]
	s_delay_alu instid0(VALU_DEP_3) | instskip(SKIP_1) | instid1(VALU_DEP_3)
	v_add_f64 v[24:25], v[24:25], v[36:37]
	v_fma_f64 v[36:37], v[141:142], s[12:13], -v[48:49]
	v_add_f64 v[10:11], v[128:129], v[10:11]
	v_mul_f64 v[128:129], v[100:101], s[34:35]
	s_delay_alu instid0(VALU_DEP_3) | instskip(SKIP_1) | instid1(VALU_DEP_3)
	v_add_f64 v[34:35], v[36:37], v[34:35]
	v_fma_f64 v[36:37], v[145:146], s[12:13], v[50:51]
	v_fma_f64 v[134:135], v[155:156], s[14:15], v[128:129]
	s_delay_alu instid0(VALU_DEP_2) | instskip(SKIP_1) | instid1(VALU_DEP_3)
	v_add_f64 v[24:25], v[36:37], v[24:25]
	v_fma_f64 v[36:37], v[155:156], s[14:15], -v[128:129]
	v_add_f64 v[8:9], v[134:135], v[8:9]
	v_mul_f64 v[134:135], v[94:95], s[34:35]
	v_mul_f64 v[94:95], v[94:95], s[24:25]
	s_delay_alu instid0(VALU_DEP_4) | instskip(NEXT) | instid1(VALU_DEP_3)
	v_add_f64 v[34:35], v[36:37], v[34:35]
	v_fma_f64 v[143:144], v[157:158], s[14:15], -v[134:135]
	v_fma_f64 v[36:37], v[157:158], s[14:15], v[134:135]
	s_delay_alu instid0(VALU_DEP_2) | instskip(SKIP_1) | instid1(VALU_DEP_3)
	v_add_f64 v[10:11], v[143:144], v[10:11]
	v_fma_f64 v[143:144], v[159:160], s[16:17], v[12:13]
	v_add_f64 v[24:25], v[36:37], v[24:25]
	v_fma_f64 v[12:13], v[159:160], s[16:17], -v[12:13]
	s_delay_alu instid0(VALU_DEP_3) | instskip(SKIP_2) | instid1(VALU_DEP_4)
	v_add_f64 v[8:9], v[143:144], v[8:9]
	v_fma_f64 v[143:144], v[161:162], s[16:17], -v[14:15]
	v_fma_f64 v[14:15], v[161:162], s[16:17], v[14:15]
	v_add_f64 v[12:13], v[12:13], v[34:35]
	v_fma_f64 v[34:35], v[171:172], s[0:1], v[165:166]
	s_delay_alu instid0(VALU_DEP_4) | instskip(NEXT) | instid1(VALU_DEP_4)
	v_add_f64 v[143:144], v[143:144], v[10:11]
	v_add_f64 v[14:15], v[14:15], v[24:25]
	v_fma_f64 v[24:25], v[167:168], s[0:1], -v[163:164]
	v_fma_f64 v[10:11], v[167:168], s[0:1], v[163:164]
	v_mul_f64 v[163:164], v[84:85], s[30:31]
	s_delay_alu instid0(VALU_DEP_4) | instskip(NEXT) | instid1(VALU_DEP_4)
	v_add_f64 v[48:49], v[34:35], v[14:15]
	v_add_f64 v[50:51], v[24:25], v[12:13]
	v_mul_f64 v[12:13], v[104:105], s[26:27]
	v_mul_f64 v[34:35], v[118:119], s[20:21]
	v_add_f64 v[10:11], v[10:11], v[8:9]
	v_fma_f64 v[8:9], v[171:172], s[0:1], -v[165:166]
	v_mul_f64 v[165:166], v[42:43], s[30:31]
	s_mov_b32 s31, 0x3fedeba7
	s_mov_b32 s30, s26
	v_mul_f64 v[42:43], v[42:43], s[34:35]
	v_mul_f64 v[169:170], v[118:119], s[30:31]
	v_mul_f64 v[173:174], v[116:117], s[30:31]
	v_fma_f64 v[14:15], v[138:139], s[0:1], -v[12:13]
	v_fma_f64 v[36:37], v[141:142], s[14:15], -v[34:35]
	v_fma_f64 v[12:13], v[138:139], s[0:1], v[12:13]
	v_add_f64 v[8:9], v[8:9], v[143:144]
	v_mul_f64 v[143:144], v[100:101], s[36:37]
	v_mul_f64 v[100:101], v[100:101], s[24:25]
	v_add_f64 v[14:15], v[14:15], v[18:19]
	v_mul_f64 v[18:19], v[102:103], s[26:27]
	v_add_f64 v[12:13], v[12:13], v[30:31]
	s_delay_alu instid0(VALU_DEP_3) | instskip(NEXT) | instid1(VALU_DEP_3)
	v_add_f64 v[14:15], v[36:37], v[14:15]
	v_fma_f64 v[24:25], v[22:23], s[0:1], v[18:19]
	v_mul_f64 v[36:37], v[116:117], s[20:21]
	v_fma_f64 v[116:117], v[145:146], s[10:11], v[187:188]
	s_delay_alu instid0(VALU_DEP_3) | instskip(NEXT) | instid1(VALU_DEP_3)
	v_add_f64 v[24:25], v[24:25], v[130:131]
	v_fma_f64 v[128:129], v[145:146], s[14:15], v[36:37]
	s_delay_alu instid0(VALU_DEP_1) | instskip(SKIP_1) | instid1(VALU_DEP_1)
	v_add_f64 v[24:25], v[128:129], v[24:25]
	v_fma_f64 v[128:129], v[155:156], s[8:9], -v[143:144]
	v_add_f64 v[14:15], v[128:129], v[14:15]
	v_fma_f64 v[128:129], v[157:158], s[8:9], v[147:148]
	s_delay_alu instid0(VALU_DEP_1) | instskip(SKIP_1) | instid1(VALU_DEP_1)
	v_add_f64 v[24:25], v[128:129], v[24:25]
	v_fma_f64 v[128:129], v[159:160], s[10:11], -v[163:164]
	;; [unrolled: 5-line block ×3, first 2 shown]
	v_add_f64 v[130:131], v[128:129], v[14:15]
	v_fma_f64 v[14:15], v[171:172], s[16:17], v[98:99]
	s_delay_alu instid0(VALU_DEP_1) | instskip(SKIP_1) | instid1(VALU_DEP_1)
	v_add_f64 v[128:129], v[14:15], v[24:25]
	v_mul_f64 v[14:15], v[104:105], s[20:21]
	v_fma_f64 v[24:25], v[138:139], s[14:15], -v[14:15]
	v_fma_f64 v[14:15], v[138:139], s[14:15], v[14:15]
	s_delay_alu instid0(VALU_DEP_2) | instskip(SKIP_1) | instid1(VALU_DEP_3)
	v_add_f64 v[16:17], v[24:25], v[16:17]
	v_mul_f64 v[24:25], v[102:103], s[20:21]
	v_add_f64 v[14:15], v[14:15], v[28:29]
	s_delay_alu instid0(VALU_DEP_2) | instskip(NEXT) | instid1(VALU_DEP_1)
	v_fma_f64 v[134:135], v[22:23], s[14:15], v[24:25]
	v_add_f64 v[132:133], v[134:135], v[132:133]
	v_fma_f64 v[134:135], v[141:142], s[0:1], -v[169:170]
	s_delay_alu instid0(VALU_DEP_1) | instskip(SKIP_1) | instid1(VALU_DEP_1)
	v_add_f64 v[16:17], v[134:135], v[16:17]
	v_fma_f64 v[134:135], v[145:146], s[0:1], v[173:174]
	v_add_f64 v[132:133], v[134:135], v[132:133]
	v_fma_f64 v[134:135], v[155:156], s[16:17], -v[106:107]
	s_delay_alu instid0(VALU_DEP_1) | instskip(SKIP_1) | instid1(VALU_DEP_1)
	v_add_f64 v[16:17], v[134:135], v[16:17]
	;; [unrolled: 5-line block ×4, first 2 shown]
	v_mul_f64 v[16:17], v[86:87], s[22:23]
	v_fma_f64 v[181:182], v[171:172], s[8:9], v[16:17]
	v_fma_f64 v[16:17], v[171:172], s[8:9], -v[16:17]
	s_delay_alu instid0(VALU_DEP_2) | instskip(SKIP_1) | instid1(VALU_DEP_1)
	v_add_f64 v[132:133], v[181:182], v[132:133]
	v_mul_f64 v[181:182], v[104:105], s[28:29]
	v_fma_f64 v[183:184], v[138:139], s[12:13], -v[181:182]
	s_delay_alu instid0(VALU_DEP_1) | instskip(SKIP_2) | instid1(VALU_DEP_2)
	v_add_f64 v[32:33], v[183:184], v[32:33]
	v_mul_f64 v[183:184], v[102:103], s[28:29]
	v_mul_f64 v[102:103], v[102:103], s[36:37]
	v_fma_f64 v[185:186], v[22:23], s[12:13], v[183:184]
	s_delay_alu instid0(VALU_DEP_1) | instskip(SKIP_1) | instid1(VALU_DEP_2)
	v_add_f64 v[20:21], v[185:186], v[20:21]
	v_mul_f64 v[185:186], v[118:119], s[24:25]
	v_add_f64 v[20:21], v[116:117], v[20:21]
	s_delay_alu instid0(VALU_DEP_2) | instskip(SKIP_1) | instid1(VALU_DEP_2)
	v_fma_f64 v[118:119], v[141:142], s[10:11], -v[185:186]
	v_fma_f64 v[116:117], v[155:156], s[0:1], -v[189:190]
	v_add_f64 v[32:33], v[118:119], v[32:33]
	s_delay_alu instid0(VALU_DEP_1) | instskip(SKIP_1) | instid1(VALU_DEP_1)
	v_add_f64 v[32:33], v[116:117], v[32:33]
	v_fma_f64 v[116:117], v[157:158], s[0:1], v[191:192]
	v_add_f64 v[20:21], v[116:117], v[20:21]
	v_fma_f64 v[116:117], v[159:160], s[8:9], -v[193:194]
	s_delay_alu instid0(VALU_DEP_1) | instskip(SKIP_1) | instid1(VALU_DEP_1)
	v_add_f64 v[32:33], v[116:117], v[32:33]
	v_fma_f64 v[116:117], v[161:162], s[8:9], v[195:196]
	v_add_f64 v[20:21], v[116:117], v[20:21]
	v_fma_f64 v[116:117], v[167:168], s[14:15], -v[197:198]
	s_delay_alu instid0(VALU_DEP_1) | instskip(SKIP_2) | instid1(VALU_DEP_2)
	v_add_f64 v[118:119], v[116:117], v[32:33]
	v_mul_f64 v[32:33], v[86:87], s[20:21]
	v_mul_f64 v[86:87], v[86:87], s[18:19]
	v_fma_f64 v[116:117], v[171:172], s[14:15], v[32:33]
	s_delay_alu instid0(VALU_DEP_1) | instskip(SKIP_1) | instid1(VALU_DEP_1)
	v_add_f64 v[116:117], v[116:117], v[20:21]
	v_mul_f64 v[20:21], v[104:105], s[36:37]
	v_fma_f64 v[104:105], v[138:139], s[8:9], -v[20:21]
	v_fma_f64 v[20:21], v[138:139], s[8:9], v[20:21]
	s_delay_alu instid0(VALU_DEP_2) | instskip(SKIP_1) | instid1(VALU_DEP_3)
	v_add_f64 v[104:105], v[104:105], v[151:152]
	v_fma_f64 v[151:152], v[22:23], s[8:9], v[102:103]
	v_add_f64 v[20:21], v[20:21], v[26:27]
	v_fma_f64 v[26:27], v[22:23], s[8:9], -v[102:103]
	s_delay_alu instid0(VALU_DEP_3) | instskip(SKIP_1) | instid1(VALU_DEP_3)
	v_add_f64 v[38:39], v[151:152], v[38:39]
	v_fma_f64 v[151:152], v[141:142], s[16:17], -v[112:113]
	v_add_f64 v[26:27], v[26:27], v[149:150]
	s_delay_alu instid0(VALU_DEP_2) | instskip(SKIP_1) | instid1(VALU_DEP_1)
	v_add_f64 v[104:105], v[151:152], v[104:105]
	v_fma_f64 v[151:152], v[145:146], s[16:17], v[114:115]
	v_add_f64 v[38:39], v[151:152], v[38:39]
	v_fma_f64 v[151:152], v[155:156], s[10:11], -v[100:101]
	s_delay_alu instid0(VALU_DEP_1) | instskip(SKIP_1) | instid1(VALU_DEP_1)
	v_add_f64 v[104:105], v[151:152], v[104:105]
	v_fma_f64 v[151:152], v[157:158], s[10:11], v[94:95]
	v_add_f64 v[38:39], v[151:152], v[38:39]
	v_mul_f64 v[151:152], v[84:85], s[34:35]
	s_delay_alu instid0(VALU_DEP_1) | instskip(NEXT) | instid1(VALU_DEP_1)
	v_fma_f64 v[84:85], v[159:160], s[14:15], -v[151:152]
	v_add_f64 v[84:85], v[84:85], v[104:105]
	v_fma_f64 v[104:105], v[161:162], s[14:15], v[42:43]
	s_delay_alu instid0(VALU_DEP_1) | instskip(SKIP_1) | instid1(VALU_DEP_1)
	v_add_f64 v[38:39], v[104:105], v[38:39]
	v_mul_f64 v[104:105], v[82:83], s[18:19]
	v_fma_f64 v[82:83], v[167:168], s[12:13], -v[104:105]
	s_delay_alu instid0(VALU_DEP_1) | instskip(SKIP_1) | instid1(VALU_DEP_1)
	v_add_f64 v[84:85], v[82:83], v[84:85]
	v_fma_f64 v[82:83], v[171:172], s[12:13], v[86:87]
	v_add_f64 v[82:83], v[82:83], v[38:39]
	v_fma_f64 v[38:39], v[141:142], s[16:17], v[112:113]
	s_delay_alu instid0(VALU_DEP_1) | instskip(SKIP_1) | instid1(VALU_DEP_1)
	v_add_f64 v[20:21], v[38:39], v[20:21]
	v_fma_f64 v[38:39], v[145:146], s[16:17], -v[114:115]
	v_add_f64 v[26:27], v[38:39], v[26:27]
	v_fma_f64 v[38:39], v[155:156], s[10:11], v[100:101]
	s_delay_alu instid0(VALU_DEP_1) | instskip(SKIP_1) | instid1(VALU_DEP_1)
	v_add_f64 v[20:21], v[38:39], v[20:21]
	v_fma_f64 v[38:39], v[157:158], s[10:11], -v[94:95]
	v_add_f64 v[26:27], v[38:39], v[26:27]
	v_fma_f64 v[38:39], v[159:160], s[14:15], v[151:152]
	s_delay_alu instid0(VALU_DEP_1) | instskip(SKIP_2) | instid1(VALU_DEP_2)
	v_add_f64 v[20:21], v[38:39], v[20:21]
	v_fma_f64 v[38:39], v[161:162], s[14:15], -v[42:43]
	v_fma_f64 v[42:43], v[171:172], s[12:13], -v[86:87]
	v_add_f64 v[26:27], v[38:39], v[26:27]
	v_fma_f64 v[38:39], v[167:168], s[12:13], v[104:105]
	s_delay_alu instid0(VALU_DEP_2) | instskip(NEXT) | instid1(VALU_DEP_2)
	v_add_f64 v[100:101], v[42:43], v[26:27]
	v_add_f64 v[102:103], v[38:39], v[20:21]
	v_fma_f64 v[20:21], v[22:23], s[14:15], -v[24:25]
	v_fma_f64 v[24:25], v[141:142], s[0:1], v[169:170]
	s_delay_alu instid0(VALU_DEP_2) | instskip(NEXT) | instid1(VALU_DEP_2)
	v_add_f64 v[20:21], v[20:21], v[153:154]
	v_add_f64 v[14:15], v[24:25], v[14:15]
	v_fma_f64 v[24:25], v[145:146], s[0:1], -v[173:174]
	s_delay_alu instid0(VALU_DEP_1) | instskip(SKIP_1) | instid1(VALU_DEP_1)
	v_add_f64 v[20:21], v[24:25], v[20:21]
	v_fma_f64 v[24:25], v[155:156], s[16:17], v[106:107]
	v_add_f64 v[14:15], v[24:25], v[14:15]
	v_fma_f64 v[24:25], v[157:158], s[16:17], -v[110:111]
	s_delay_alu instid0(VALU_DEP_1) | instskip(SKIP_1) | instid1(VALU_DEP_1)
	v_add_f64 v[20:21], v[24:25], v[20:21]
	v_fma_f64 v[24:25], v[159:160], s[12:13], v[175:176]
	v_add_f64 v[14:15], v[24:25], v[14:15]
	v_fma_f64 v[24:25], v[161:162], s[12:13], -v[177:178]
	s_delay_alu instid0(VALU_DEP_1) | instskip(SKIP_1) | instid1(VALU_DEP_2)
	v_add_f64 v[20:21], v[24:25], v[20:21]
	v_fma_f64 v[24:25], v[167:168], s[8:9], v[179:180]
	v_add_f64 v[104:105], v[16:17], v[20:21]
	s_delay_alu instid0(VALU_DEP_2) | instskip(SKIP_4) | instid1(VALU_DEP_4)
	v_add_f64 v[106:107], v[24:25], v[14:15]
	v_fma_f64 v[14:15], v[22:23], s[0:1], -v[18:19]
	v_fma_f64 v[16:17], v[141:142], s[14:15], v[34:35]
	v_fma_f64 v[18:19], v[171:172], s[16:17], -v[98:99]
	v_fma_f64 v[20:21], v[155:156], s[0:1], v[189:190]
	v_add_f64 v[14:15], v[14:15], v[136:137]
	s_delay_alu instid0(VALU_DEP_4) | instskip(SKIP_1) | instid1(VALU_DEP_1)
	v_add_f64 v[12:13], v[16:17], v[12:13]
	v_fma_f64 v[16:17], v[145:146], s[14:15], -v[36:37]
	v_add_f64 v[14:15], v[16:17], v[14:15]
	v_fma_f64 v[16:17], v[155:156], s[8:9], v[143:144]
	s_delay_alu instid0(VALU_DEP_1) | instskip(SKIP_1) | instid1(VALU_DEP_1)
	v_add_f64 v[12:13], v[16:17], v[12:13]
	v_fma_f64 v[16:17], v[157:158], s[8:9], -v[147:148]
	v_add_f64 v[14:15], v[16:17], v[14:15]
	v_fma_f64 v[16:17], v[159:160], s[10:11], v[163:164]
	s_delay_alu instid0(VALU_DEP_1) | instskip(SKIP_1) | instid1(VALU_DEP_1)
	v_add_f64 v[12:13], v[16:17], v[12:13]
	v_fma_f64 v[16:17], v[161:162], s[10:11], -v[165:166]
	v_add_f64 v[14:15], v[16:17], v[14:15]
	v_fma_f64 v[16:17], v[167:168], s[16:17], v[92:93]
	s_delay_alu instid0(VALU_DEP_2) | instskip(NEXT) | instid1(VALU_DEP_2)
	v_add_f64 v[92:93], v[18:19], v[14:15]
	v_add_f64 v[94:95], v[16:17], v[12:13]
	;; [unrolled: 1-line block ×4, first 2 shown]
	v_fma_f64 v[16:17], v[141:142], s[10:11], v[185:186]
	v_fma_f64 v[18:19], v[145:146], s[10:11], -v[187:188]
	s_delay_alu instid0(VALU_DEP_4) | instskip(NEXT) | instid1(VALU_DEP_4)
	v_add_f64 v[12:13], v[12:13], v[88:89]
	v_add_f64 v[14:15], v[14:15], v[78:79]
	s_delay_alu instid0(VALU_DEP_2) | instskip(NEXT) | instid1(VALU_DEP_2)
	v_add_f64 v[12:13], v[12:13], v[96:97]
	v_add_f64 v[14:15], v[14:15], v[108:109]
	s_delay_alu instid0(VALU_DEP_2) | instskip(NEXT) | instid1(VALU_DEP_2)
	;; [unrolled: 3-line block ×8, first 2 shown]
	v_add_f64 v[12:13], v[12:13], v[76:77]
	v_add_f64 v[14:15], v[14:15], v[52:53]
	s_delay_alu instid0(VALU_DEP_2) | instskip(SKIP_1) | instid1(VALU_DEP_3)
	v_add_f64 v[42:43], v[12:13], v[40:41]
	v_fma_f64 v[12:13], v[138:139], s[12:13], v[181:182]
	v_add_f64 v[40:41], v[14:15], v[54:55]
	v_fma_f64 v[14:15], v[22:23], s[12:13], -v[183:184]
	v_fma_f64 v[22:23], v[157:158], s[0:1], -v[191:192]
	s_delay_alu instid0(VALU_DEP_4) | instskip(SKIP_4) | instid1(VALU_DEP_3)
	v_add_f64 v[12:13], v[12:13], v[124:125]
	ds_store_b128 v255, v[40:43]
	v_add_f64 v[14:15], v[14:15], v[126:127]
	v_add_f64 v[12:13], v[16:17], v[12:13]
	v_fma_f64 v[16:17], v[159:160], s[8:9], v[193:194]
	v_add_f64 v[14:15], v[18:19], v[14:15]
	v_fma_f64 v[18:19], v[161:162], s[8:9], -v[195:196]
	s_delay_alu instid0(VALU_DEP_4) | instskip(SKIP_1) | instid1(VALU_DEP_4)
	v_add_f64 v[12:13], v[20:21], v[12:13]
	v_fma_f64 v[20:21], v[167:168], s[14:15], v[197:198]
	v_add_f64 v[14:15], v[22:23], v[14:15]
	v_fma_f64 v[22:23], v[171:172], s[14:15], -v[32:33]
	s_delay_alu instid0(VALU_DEP_4) | instskip(NEXT) | instid1(VALU_DEP_3)
	v_add_f64 v[12:13], v[16:17], v[12:13]
	v_add_f64 v[14:15], v[18:19], v[14:15]
	s_delay_alu instid0(VALU_DEP_2)
	v_add_f64 v[46:47], v[20:21], v[12:13]
	scratch_load_b32 v12, off, off offset:164 ; 4-byte Folded Reload
	v_add_f64 v[44:45], v[22:23], v[14:15]
	s_waitcnt vmcnt(0)
	v_lshl_add_u32 v12, v199, 4, v12
	ds_store_b128 v12, v[116:119] offset:800
	ds_store_b128 v12, v[128:131] offset:1600
	;; [unrolled: 1-line block ×12, first 2 shown]
.LBB0_9:
	s_or_b32 exec_lo, exec_lo, s33
	s_waitcnt lgkmcnt(0)
	s_barrier
	buffer_gl0_inv
	ds_load_b128 v[0:3], v255
	ds_load_b128 v[4:7], v255 offset:1040
	ds_load_b128 v[8:11], v255 offset:2080
	;; [unrolled: 1-line block ×5, first 2 shown]
	scratch_load_b32 v87, off, off          ; 4-byte Folded Reload
	ds_load_b128 v[52:55], v255 offset:6240
	ds_load_b128 v[56:59], v255 offset:7280
	;; [unrolled: 1-line block ×4, first 2 shown]
	s_clause 0x1
	scratch_load_b128 v[88:91], off, off offset:4
	scratch_load_b128 v[102:105], off, off offset:100
	v_mad_u64_u32 v[12:13], null, s6, v140, 0
	s_mul_i32 s0, s5, 0x410
	s_mul_hi_u32 s1, s4, 0x410
	s_waitcnt vmcnt(2)
	v_mad_u64_u32 v[14:15], null, s4, v87, 0
	s_waitcnt vmcnt(1) lgkmcnt(9)
	v_mul_f64 v[16:17], v[90:91], v[2:3]
	v_mul_f64 v[18:19], v[90:91], v[0:1]
	scratch_load_b128 v[90:93], off, off offset:20 ; 16-byte Folded Reload
	s_waitcnt vmcnt(1) lgkmcnt(5)
	v_mul_f64 v[32:33], v[104:105], v[46:47]
	v_mul_f64 v[34:35], v[104:105], v[44:45]
	scratch_load_b128 v[104:107], off, off offset:116 ; 16-byte Folded Reload
	v_mad_u64_u32 v[84:85], null, s7, v140, v[13:14]
	s_delay_alu instid0(VALU_DEP_1) | instskip(NEXT) | instid1(VALU_DEP_1)
	v_mov_b32_e32 v13, v84
	v_lshlrev_b64 v[12:13], 4, v[12:13]
	s_delay_alu instid0(VALU_DEP_1) | instskip(NEXT) | instid1(VALU_DEP_2)
	v_add_co_u32 v12, vcc_lo, s2, v12
	v_add_co_ci_u32_e32 v13, vcc_lo, s3, v13, vcc_lo
	s_add_i32 s3, s1, s0
	s_mov_b32 s0, 0x7f9b2ce6
	s_mov_b32 s1, 0x3f5934c6
	s_mul_i32 s2, s4, 0x410
	v_fma_f64 v[0:1], v[88:89], v[0:1], v[16:17]
	v_fma_f64 v[2:3], v[88:89], v[2:3], -v[18:19]
	v_mad_u64_u32 v[85:86], null, s5, v87, v[15:16]
	s_delay_alu instid0(VALU_DEP_1) | instskip(NEXT) | instid1(VALU_DEP_1)
	v_mov_b32_e32 v15, v85
	v_lshlrev_b64 v[14:15], 4, v[14:15]
	v_mul_f64 v[0:1], v[0:1], s[0:1]
	v_mul_f64 v[2:3], v[2:3], s[0:1]
	s_waitcnt vmcnt(1)
	v_mul_f64 v[20:21], v[92:93], v[6:7]
	v_mul_f64 v[22:23], v[92:93], v[4:5]
	scratch_load_b128 v[92:95], off, off offset:36 ; 16-byte Folded Reload
	s_waitcnt vmcnt(1) lgkmcnt(3)
	v_mul_f64 v[68:69], v[106:107], v[54:55]
	v_mul_f64 v[70:71], v[106:107], v[52:53]
	scratch_load_b128 v[106:109], off, off offset:132 ; 16-byte Folded Reload
	v_fma_f64 v[4:5], v[90:91], v[4:5], v[20:21]
	v_fma_f64 v[6:7], v[90:91], v[6:7], -v[22:23]
	v_fma_f64 v[20:21], v[102:103], v[44:45], v[32:33]
	v_fma_f64 v[22:23], v[102:103], v[46:47], -v[34:35]
	v_add_co_u32 v44, vcc_lo, v12, v14
	v_add_co_ci_u32_e32 v45, vcc_lo, v13, v15, vcc_lo
	s_delay_alu instid0(VALU_DEP_2) | instskip(NEXT) | instid1(VALU_DEP_2)
	v_add_co_u32 v46, vcc_lo, v44, s2
	v_add_co_ci_u32_e32 v47, vcc_lo, s3, v45, vcc_lo
	v_mul_f64 v[4:5], v[4:5], s[0:1]
	v_mul_f64 v[6:7], v[6:7], s[0:1]
	s_waitcnt vmcnt(1)
	v_mul_f64 v[24:25], v[94:95], v[10:11]
	v_mul_f64 v[26:27], v[94:95], v[8:9]
	scratch_load_b128 v[94:97], off, off offset:52 ; 16-byte Folded Reload
	s_waitcnt vmcnt(1) lgkmcnt(1)
	v_mul_f64 v[76:77], v[108:109], v[62:63]
	v_mul_f64 v[78:79], v[108:109], v[60:61]
	scratch_load_b128 v[108:111], off, off offset:148 ; 16-byte Folded Reload
	v_fma_f64 v[8:9], v[92:93], v[8:9], v[24:25]
	v_fma_f64 v[10:11], v[92:93], v[10:11], -v[26:27]
	s_delay_alu instid0(VALU_DEP_2) | instskip(NEXT) | instid1(VALU_DEP_2)
	v_mul_f64 v[8:9], v[8:9], s[0:1]
	v_mul_f64 v[10:11], v[10:11], s[0:1]
	s_waitcnt vmcnt(1)
	v_mul_f64 v[28:29], v[96:97], v[42:43]
	v_mul_f64 v[30:31], v[96:97], v[40:41]
	scratch_load_b128 v[96:99], off, off offset:68 ; 16-byte Folded Reload
	s_waitcnt vmcnt(1) lgkmcnt(0)
	v_mul_f64 v[80:81], v[110:111], v[66:67]
	v_mul_f64 v[82:83], v[110:111], v[64:65]
	v_fma_f64 v[16:17], v[94:95], v[40:41], v[28:29]
	v_fma_f64 v[18:19], v[94:95], v[42:43], -v[30:31]
	v_fma_f64 v[28:29], v[104:105], v[52:53], v[68:69]
	v_fma_f64 v[30:31], v[104:105], v[54:55], -v[70:71]
	;; [unrolled: 2-line block ×3, first 2 shown]
	v_mul_f64 v[12:13], v[16:17], s[0:1]
	v_mul_f64 v[14:15], v[18:19], s[0:1]
	;; [unrolled: 1-line block ×4, first 2 shown]
	s_waitcnt vmcnt(0)
	v_mul_f64 v[36:37], v[98:99], v[50:51]
	v_mul_f64 v[38:39], v[98:99], v[48:49]
	scratch_load_b128 v[98:101], off, off offset:84 ; 16-byte Folded Reload
	v_fma_f64 v[24:25], v[96:97], v[48:49], v[36:37]
	v_fma_f64 v[26:27], v[96:97], v[50:51], -v[38:39]
	v_fma_f64 v[36:37], v[106:107], v[60:61], v[76:77]
	v_fma_f64 v[38:39], v[106:107], v[62:63], -v[78:79]
	v_add_co_u32 v48, vcc_lo, v46, s2
	v_add_co_ci_u32_e32 v49, vcc_lo, s3, v47, vcc_lo
	v_mul_f64 v[20:21], v[24:25], s[0:1]
	v_mul_f64 v[22:23], v[26:27], s[0:1]
	;; [unrolled: 1-line block ×4, first 2 shown]
	s_waitcnt vmcnt(0)
	v_mul_f64 v[72:73], v[100:101], v[58:59]
	v_mul_f64 v[74:75], v[100:101], v[56:57]
	s_delay_alu instid0(VALU_DEP_2) | instskip(NEXT) | instid1(VALU_DEP_2)
	v_fma_f64 v[32:33], v[98:99], v[56:57], v[72:73]
	v_fma_f64 v[34:35], v[98:99], v[58:59], -v[74:75]
	s_delay_alu instid0(VALU_DEP_2) | instskip(NEXT) | instid1(VALU_DEP_2)
	v_mul_f64 v[28:29], v[32:33], s[0:1]
	v_mul_f64 v[30:31], v[34:35], s[0:1]
	v_mul_f64 v[32:33], v[36:37], s[0:1]
	v_mul_f64 v[34:35], v[38:39], s[0:1]
	v_mul_f64 v[36:37], v[40:41], s[0:1]
	v_mul_f64 v[38:39], v[42:43], s[0:1]
	v_add_co_u32 v40, vcc_lo, v48, s2
	v_add_co_ci_u32_e32 v41, vcc_lo, s3, v49, vcc_lo
	s_clause 0x3
	global_store_b128 v[44:45], v[0:3], off
	global_store_b128 v[46:47], v[4:7], off
	;; [unrolled: 1-line block ×4, first 2 shown]
	v_add_co_u32 v42, vcc_lo, v40, s2
	v_add_co_ci_u32_e32 v43, vcc_lo, s3, v41, vcc_lo
	s_delay_alu instid0(VALU_DEP_2) | instskip(NEXT) | instid1(VALU_DEP_2)
	v_add_co_u32 v50, vcc_lo, v42, s2
	v_add_co_ci_u32_e32 v51, vcc_lo, s3, v43, vcc_lo
	global_store_b128 v[42:43], v[16:19], off
	v_add_co_u32 v52, vcc_lo, v50, s2
	v_add_co_ci_u32_e32 v53, vcc_lo, s3, v51, vcc_lo
	s_delay_alu instid0(VALU_DEP_2) | instskip(NEXT) | instid1(VALU_DEP_2)
	v_add_co_u32 v54, vcc_lo, v52, s2
	v_add_co_ci_u32_e32 v55, vcc_lo, s3, v53, vcc_lo
	s_delay_alu instid0(VALU_DEP_2) | instskip(NEXT) | instid1(VALU_DEP_2)
	;; [unrolled: 3-line block ×3, first 2 shown]
	v_add_co_u32 v2, vcc_lo, v0, s2
	v_add_co_ci_u32_e32 v3, vcc_lo, s3, v1, vcc_lo
	global_store_b128 v[50:51], v[20:23], off
	global_store_b128 v[52:53], v[24:27], off
	;; [unrolled: 1-line block ×5, first 2 shown]
.LBB0_10:
	s_nop 0
	s_sendmsg sendmsg(MSG_DEALLOC_VGPRS)
	s_endpgm
	.section	.rodata,"a",@progbits
	.p2align	6, 0x0
	.amdhsa_kernel bluestein_single_back_len650_dim1_dp_op_CI_CI
		.amdhsa_group_segment_fixed_size 31200
		.amdhsa_private_segment_fixed_size 396
		.amdhsa_kernarg_size 104
		.amdhsa_user_sgpr_count 15
		.amdhsa_user_sgpr_dispatch_ptr 0
		.amdhsa_user_sgpr_queue_ptr 0
		.amdhsa_user_sgpr_kernarg_segment_ptr 1
		.amdhsa_user_sgpr_dispatch_id 0
		.amdhsa_user_sgpr_private_segment_size 0
		.amdhsa_wavefront_size32 1
		.amdhsa_uses_dynamic_stack 0
		.amdhsa_enable_private_segment 1
		.amdhsa_system_sgpr_workgroup_id_x 1
		.amdhsa_system_sgpr_workgroup_id_y 0
		.amdhsa_system_sgpr_workgroup_id_z 0
		.amdhsa_system_sgpr_workgroup_info 0
		.amdhsa_system_vgpr_workitem_id 0
		.amdhsa_next_free_vgpr 256
		.amdhsa_next_free_sgpr 44
		.amdhsa_reserve_vcc 1
		.amdhsa_float_round_mode_32 0
		.amdhsa_float_round_mode_16_64 0
		.amdhsa_float_denorm_mode_32 3
		.amdhsa_float_denorm_mode_16_64 3
		.amdhsa_dx10_clamp 1
		.amdhsa_ieee_mode 1
		.amdhsa_fp16_overflow 0
		.amdhsa_workgroup_processor_mode 1
		.amdhsa_memory_ordered 1
		.amdhsa_forward_progress 0
		.amdhsa_shared_vgpr_count 0
		.amdhsa_exception_fp_ieee_invalid_op 0
		.amdhsa_exception_fp_denorm_src 0
		.amdhsa_exception_fp_ieee_div_zero 0
		.amdhsa_exception_fp_ieee_overflow 0
		.amdhsa_exception_fp_ieee_underflow 0
		.amdhsa_exception_fp_ieee_inexact 0
		.amdhsa_exception_int_div_zero 0
	.end_amdhsa_kernel
	.text
.Lfunc_end0:
	.size	bluestein_single_back_len650_dim1_dp_op_CI_CI, .Lfunc_end0-bluestein_single_back_len650_dim1_dp_op_CI_CI
                                        ; -- End function
	.section	.AMDGPU.csdata,"",@progbits
; Kernel info:
; codeLenInByte = 19312
; NumSgprs: 46
; NumVgprs: 256
; ScratchSize: 396
; MemoryBound: 0
; FloatMode: 240
; IeeeMode: 1
; LDSByteSize: 31200 bytes/workgroup (compile time only)
; SGPRBlocks: 5
; VGPRBlocks: 31
; NumSGPRsForWavesPerEU: 46
; NumVGPRsForWavesPerEU: 256
; Occupancy: 5
; WaveLimiterHint : 1
; COMPUTE_PGM_RSRC2:SCRATCH_EN: 1
; COMPUTE_PGM_RSRC2:USER_SGPR: 15
; COMPUTE_PGM_RSRC2:TRAP_HANDLER: 0
; COMPUTE_PGM_RSRC2:TGID_X_EN: 1
; COMPUTE_PGM_RSRC2:TGID_Y_EN: 0
; COMPUTE_PGM_RSRC2:TGID_Z_EN: 0
; COMPUTE_PGM_RSRC2:TIDIG_COMP_CNT: 0
	.text
	.p2alignl 7, 3214868480
	.fill 96, 4, 3214868480
	.type	__hip_cuid_b60ac46d3c6a0e10,@object ; @__hip_cuid_b60ac46d3c6a0e10
	.section	.bss,"aw",@nobits
	.globl	__hip_cuid_b60ac46d3c6a0e10
__hip_cuid_b60ac46d3c6a0e10:
	.byte	0                               ; 0x0
	.size	__hip_cuid_b60ac46d3c6a0e10, 1

	.ident	"AMD clang version 19.0.0git (https://github.com/RadeonOpenCompute/llvm-project roc-6.4.0 25133 c7fe45cf4b819c5991fe208aaa96edf142730f1d)"
	.section	".note.GNU-stack","",@progbits
	.addrsig
	.addrsig_sym __hip_cuid_b60ac46d3c6a0e10
	.amdgpu_metadata
---
amdhsa.kernels:
  - .args:
      - .actual_access:  read_only
        .address_space:  global
        .offset:         0
        .size:           8
        .value_kind:     global_buffer
      - .actual_access:  read_only
        .address_space:  global
        .offset:         8
        .size:           8
        .value_kind:     global_buffer
      - .actual_access:  read_only
        .address_space:  global
        .offset:         16
        .size:           8
        .value_kind:     global_buffer
      - .actual_access:  read_only
        .address_space:  global
        .offset:         24
        .size:           8
        .value_kind:     global_buffer
      - .actual_access:  read_only
        .address_space:  global
        .offset:         32
        .size:           8
        .value_kind:     global_buffer
      - .offset:         40
        .size:           8
        .value_kind:     by_value
      - .address_space:  global
        .offset:         48
        .size:           8
        .value_kind:     global_buffer
      - .address_space:  global
        .offset:         56
        .size:           8
        .value_kind:     global_buffer
      - .address_space:  global
        .offset:         64
        .size:           8
        .value_kind:     global_buffer
      - .address_space:  global
        .offset:         72
        .size:           8
        .value_kind:     global_buffer
      - .offset:         80
        .size:           4
        .value_kind:     by_value
      - .address_space:  global
        .offset:         88
        .size:           8
        .value_kind:     global_buffer
      - .address_space:  global
        .offset:         96
        .size:           8
        .value_kind:     global_buffer
    .group_segment_fixed_size: 31200
    .kernarg_segment_align: 8
    .kernarg_segment_size: 104
    .language:       OpenCL C
    .language_version:
      - 2
      - 0
    .max_flat_workgroup_size: 195
    .name:           bluestein_single_back_len650_dim1_dp_op_CI_CI
    .private_segment_fixed_size: 396
    .sgpr_count:     46
    .sgpr_spill_count: 0
    .symbol:         bluestein_single_back_len650_dim1_dp_op_CI_CI.kd
    .uniform_work_group_size: 1
    .uses_dynamic_stack: false
    .vgpr_count:     256
    .vgpr_spill_count: 98
    .wavefront_size: 32
    .workgroup_processor_mode: 1
amdhsa.target:   amdgcn-amd-amdhsa--gfx1100
amdhsa.version:
  - 1
  - 2
...

	.end_amdgpu_metadata
